;; amdgpu-corpus repo=ROCm/rccl kind=compiled arch=gfx942 opt=O3
	.text
	.amdgcn_target "amdgcn-amd-amdhsa--gfx942"
	.amdhsa_code_object_version 6
	.p2align	2                               ; -- Begin function __ockl_fprintf_append_string_n
	.type	__ockl_fprintf_append_string_n,@function
__ockl_fprintf_append_string_n:         ; @__ockl_fprintf_append_string_n
; %bb.0:
	s_waitcnt vmcnt(0) expcnt(0) lgkmcnt(0)
	v_mov_b32_e32 v9, v3
	v_mov_b32_e32 v8, v2
	v_or_b32_e32 v2, 2, v0
	v_cmp_eq_u32_e32 vcc, 0, v6
	s_mov_b32 s18, 0
	s_mov_b64 s[2:3], 0
	v_cndmask_b32_e32 v0, v2, v0, vcc
	v_cmp_ne_u64_e32 vcc, 0, v[8:9]
	v_mbcnt_lo_u32_b32 v2, -1, 0
	s_and_saveexec_b64 s[0:1], vcc
	s_xor_b64 s[4:5], exec, s[0:1]
	s_cbranch_execz .LBB0_86
; %bb.1:
	s_load_dwordx2 s[6:7], s[8:9], 0x50
	v_and_b32_e32 v6, 2, v0
	v_mov_b32_e32 v31, 0
	v_and_b32_e32 v0, -3, v0
	v_mbcnt_hi_u32_b32 v32, -1, v2
	s_movk_i32 s19, 0xff1f
	v_mov_b32_e32 v12, 2
	v_mov_b32_e32 v13, 1
	s_branch .LBB0_3
.LBB0_2:                                ;   in Loop: Header=BB0_3 Depth=1
	s_or_b64 exec, exec, s[12:13]
	v_sub_co_u32_e32 v4, vcc, v4, v34
	v_lshl_add_u64 v[8:9], v[8:9], 0, v[34:35]
	s_nop 0
	v_subb_co_u32_e32 v5, vcc, v5, v35, vcc
	v_cmp_eq_u64_e32 vcc, 0, v[4:5]
	s_or_b64 s[2:3], vcc, s[2:3]
	s_andn2_b64 exec, exec, s[2:3]
	s_cbranch_execz .LBB0_85
.LBB0_3:                                ; =>This Loop Header: Depth=1
                                        ;     Child Loop BB0_6 Depth 2
                                        ;     Child Loop BB0_14 Depth 2
	;; [unrolled: 1-line block ×11, first 2 shown]
	v_cmp_gt_u64_e32 vcc, 56, v[4:5]
                                        ; implicit-def: $vgpr2_vgpr3
                                        ; implicit-def: $sgpr10
	s_nop 1
	v_cndmask_b32_e32 v35, 0, v5, vcc
	v_cndmask_b32_e32 v34, 56, v4, vcc
	v_cmp_gt_u64_e32 vcc, 8, v[4:5]
	s_and_saveexec_b64 s[0:1], vcc
	s_xor_b64 s[0:1], exec, s[0:1]
	s_cbranch_execz .LBB0_9
; %bb.4:                                ;   in Loop: Header=BB0_3 Depth=1
	s_mov_b64 s[12:13], 0
	v_cmp_ne_u64_e32 vcc, 0, v[4:5]
	s_waitcnt vmcnt(0)
	v_mov_b64_e32 v[2:3], 0
	s_and_saveexec_b64 s[10:11], vcc
	s_cbranch_execz .LBB0_8
; %bb.5:                                ;   in Loop: Header=BB0_3 Depth=1
	v_lshlrev_b64 v[10:11], 3, v[34:35]
	v_mov_b64_e32 v[2:3], 0
	v_mov_b64_e32 v[14:15], v[8:9]
	s_mov_b64 s[14:15], 0
.LBB0_6:                                ;   Parent Loop BB0_3 Depth=1
                                        ; =>  This Inner Loop Header: Depth=2
	flat_load_ubyte v7, v[14:15]
	v_mov_b32_e32 v17, s18
	v_lshl_add_u64 v[14:15], v[14:15], 0, 1
	s_waitcnt vmcnt(0) lgkmcnt(0)
	v_and_b32_e32 v16, 0xffff, v7
	v_lshlrev_b64 v[16:17], s14, v[16:17]
	s_add_u32 s14, s14, 8
	s_addc_u32 s15, s15, 0
	v_cmp_eq_u32_e32 vcc, s14, v10
	v_or_b32_e32 v3, v17, v3
	s_or_b64 s[12:13], vcc, s[12:13]
	v_or_b32_e32 v2, v16, v2
	s_andn2_b64 exec, exec, s[12:13]
	s_cbranch_execnz .LBB0_6
; %bb.7:                                ;   in Loop: Header=BB0_3 Depth=1
	s_or_b64 exec, exec, s[12:13]
.LBB0_8:                                ;   in Loop: Header=BB0_3 Depth=1
	s_or_b64 exec, exec, s[10:11]
	s_mov_b32 s10, 0
.LBB0_9:                                ;   in Loop: Header=BB0_3 Depth=1
	s_or_saveexec_b64 s[0:1], s[0:1]
	v_mov_b32_e32 v7, s10
	v_mov_b64_e32 v[10:11], v[8:9]
	s_xor_b64 exec, exec, s[0:1]
	s_cbranch_execz .LBB0_11
; %bb.10:                               ;   in Loop: Header=BB0_3 Depth=1
	s_waitcnt vmcnt(0)
	flat_load_dwordx2 v[2:3], v[8:9]
	v_add_u32_e32 v7, -8, v34
	s_waitcnt vmcnt(0) lgkmcnt(0)
	v_and_b32_e32 v10, 0xff, v3
	v_and_b32_e32 v11, 0xff00, v3
	;; [unrolled: 1-line block ×4, first 2 shown]
	v_or_b32_e32 v10, v10, v11
	v_or3_b32 v2, v2, 0, 0
	v_or3_b32 v3, v10, v14, v3
	v_lshl_add_u64 v[10:11], v[8:9], 0, 8
.LBB0_11:                               ;   in Loop: Header=BB0_3 Depth=1
	s_or_b64 exec, exec, s[0:1]
	v_cmp_gt_u32_e32 vcc, 8, v7
                                        ; implicit-def: $vgpr14_vgpr15
                                        ; implicit-def: $sgpr10
	s_and_saveexec_b64 s[0:1], vcc
	s_xor_b64 s[0:1], exec, s[0:1]
	s_cbranch_execz .LBB0_17
; %bb.12:                               ;   in Loop: Header=BB0_3 Depth=1
	v_cmp_ne_u32_e32 vcc, 0, v7
	v_mov_b64_e32 v[14:15], 0
	s_and_saveexec_b64 s[10:11], vcc
	s_cbranch_execz .LBB0_16
; %bb.13:                               ;   in Loop: Header=BB0_3 Depth=1
	s_mov_b64 s[12:13], 0
	v_mov_b64_e32 v[14:15], 0
	s_mov_b64 s[14:15], 0
	s_mov_b64 s[16:17], 0
.LBB0_14:                               ;   Parent Loop BB0_3 Depth=1
                                        ; =>  This Inner Loop Header: Depth=2
	v_lshl_add_u64 v[16:17], v[10:11], 0, s[16:17]
	flat_load_ubyte v16, v[16:17]
	s_add_u32 s16, s16, 1
	v_mov_b32_e32 v17, s18
	s_addc_u32 s17, s17, 0
	v_cmp_eq_u32_e32 vcc, s16, v7
	s_waitcnt vmcnt(0) lgkmcnt(0)
	v_and_b32_e32 v16, 0xffff, v16
	v_lshlrev_b64 v[16:17], s14, v[16:17]
	s_add_u32 s14, s14, 8
	s_addc_u32 s15, s15, 0
	v_or_b32_e32 v15, v17, v15
	s_or_b64 s[12:13], vcc, s[12:13]
	v_or_b32_e32 v14, v16, v14
	s_andn2_b64 exec, exec, s[12:13]
	s_cbranch_execnz .LBB0_14
; %bb.15:                               ;   in Loop: Header=BB0_3 Depth=1
	s_or_b64 exec, exec, s[12:13]
.LBB0_16:                               ;   in Loop: Header=BB0_3 Depth=1
	s_or_b64 exec, exec, s[10:11]
	s_mov_b32 s10, 0
                                        ; implicit-def: $vgpr7
.LBB0_17:                               ;   in Loop: Header=BB0_3 Depth=1
	s_or_saveexec_b64 s[0:1], s[0:1]
	v_mov_b32_e32 v18, s10
	s_xor_b64 exec, exec, s[0:1]
	s_cbranch_execz .LBB0_19
; %bb.18:                               ;   in Loop: Header=BB0_3 Depth=1
	flat_load_dwordx2 v[14:15], v[10:11]
	v_add_u32_e32 v18, -8, v7
	v_lshl_add_u64 v[10:11], v[10:11], 0, 8
	s_waitcnt vmcnt(0) lgkmcnt(0)
	v_and_b32_e32 v7, 0xff, v15
	v_and_b32_e32 v16, 0xff00, v15
	;; [unrolled: 1-line block ×4, first 2 shown]
	v_or_b32_e32 v7, v7, v16
	v_or3_b32 v14, v14, 0, 0
	v_or3_b32 v15, v7, v17, v15
.LBB0_19:                               ;   in Loop: Header=BB0_3 Depth=1
	s_or_b64 exec, exec, s[0:1]
	v_cmp_gt_u32_e32 vcc, 8, v18
                                        ; implicit-def: $sgpr10
	s_and_saveexec_b64 s[0:1], vcc
	s_xor_b64 s[0:1], exec, s[0:1]
	s_cbranch_execz .LBB0_25
; %bb.20:                               ;   in Loop: Header=BB0_3 Depth=1
	v_cmp_ne_u32_e32 vcc, 0, v18
	v_mov_b64_e32 v[16:17], 0
	s_and_saveexec_b64 s[10:11], vcc
	s_cbranch_execz .LBB0_24
; %bb.21:                               ;   in Loop: Header=BB0_3 Depth=1
	s_mov_b64 s[12:13], 0
	v_mov_b64_e32 v[16:17], 0
	s_mov_b64 s[14:15], 0
	s_mov_b64 s[16:17], 0
.LBB0_22:                               ;   Parent Loop BB0_3 Depth=1
                                        ; =>  This Inner Loop Header: Depth=2
	v_lshl_add_u64 v[20:21], v[10:11], 0, s[16:17]
	flat_load_ubyte v7, v[20:21]
	s_add_u32 s16, s16, 1
	v_mov_b32_e32 v21, s18
	s_addc_u32 s17, s17, 0
	v_cmp_eq_u32_e32 vcc, s16, v18
	s_waitcnt vmcnt(0) lgkmcnt(0)
	v_and_b32_e32 v20, 0xffff, v7
	v_lshlrev_b64 v[20:21], s14, v[20:21]
	s_add_u32 s14, s14, 8
	s_addc_u32 s15, s15, 0
	v_or_b32_e32 v17, v21, v17
	s_or_b64 s[12:13], vcc, s[12:13]
	v_or_b32_e32 v16, v20, v16
	s_andn2_b64 exec, exec, s[12:13]
	s_cbranch_execnz .LBB0_22
; %bb.23:                               ;   in Loop: Header=BB0_3 Depth=1
	s_or_b64 exec, exec, s[12:13]
.LBB0_24:                               ;   in Loop: Header=BB0_3 Depth=1
	s_or_b64 exec, exec, s[10:11]
	s_mov_b32 s10, 0
                                        ; implicit-def: $vgpr18
.LBB0_25:                               ;   in Loop: Header=BB0_3 Depth=1
	s_or_saveexec_b64 s[0:1], s[0:1]
	v_mov_b32_e32 v7, s10
	s_xor_b64 exec, exec, s[0:1]
	s_cbranch_execz .LBB0_27
; %bb.26:                               ;   in Loop: Header=BB0_3 Depth=1
	flat_load_dwordx2 v[16:17], v[10:11]
	v_add_u32_e32 v7, -8, v18
	v_lshl_add_u64 v[10:11], v[10:11], 0, 8
	s_waitcnt vmcnt(0) lgkmcnt(0)
	v_and_b32_e32 v18, 0xff, v17
	v_and_b32_e32 v19, 0xff00, v17
	;; [unrolled: 1-line block ×4, first 2 shown]
	v_or_b32_e32 v18, v18, v19
	v_or3_b32 v16, v16, 0, 0
	v_or3_b32 v17, v18, v20, v17
.LBB0_27:                               ;   in Loop: Header=BB0_3 Depth=1
	s_or_b64 exec, exec, s[0:1]
	v_cmp_gt_u32_e32 vcc, 8, v7
                                        ; implicit-def: $vgpr18_vgpr19
                                        ; implicit-def: $sgpr10
	s_and_saveexec_b64 s[0:1], vcc
	s_xor_b64 s[0:1], exec, s[0:1]
	s_cbranch_execz .LBB0_33
; %bb.28:                               ;   in Loop: Header=BB0_3 Depth=1
	v_cmp_ne_u32_e32 vcc, 0, v7
	v_mov_b64_e32 v[18:19], 0
	s_and_saveexec_b64 s[10:11], vcc
	s_cbranch_execz .LBB0_32
; %bb.29:                               ;   in Loop: Header=BB0_3 Depth=1
	s_mov_b64 s[12:13], 0
	v_mov_b64_e32 v[18:19], 0
	s_mov_b64 s[14:15], 0
	s_mov_b64 s[16:17], 0
.LBB0_30:                               ;   Parent Loop BB0_3 Depth=1
                                        ; =>  This Inner Loop Header: Depth=2
	v_lshl_add_u64 v[20:21], v[10:11], 0, s[16:17]
	flat_load_ubyte v20, v[20:21]
	s_add_u32 s16, s16, 1
	v_mov_b32_e32 v21, s18
	s_addc_u32 s17, s17, 0
	v_cmp_eq_u32_e32 vcc, s16, v7
	s_waitcnt vmcnt(0) lgkmcnt(0)
	v_and_b32_e32 v20, 0xffff, v20
	v_lshlrev_b64 v[20:21], s14, v[20:21]
	s_add_u32 s14, s14, 8
	s_addc_u32 s15, s15, 0
	v_or_b32_e32 v19, v21, v19
	s_or_b64 s[12:13], vcc, s[12:13]
	v_or_b32_e32 v18, v20, v18
	s_andn2_b64 exec, exec, s[12:13]
	s_cbranch_execnz .LBB0_30
; %bb.31:                               ;   in Loop: Header=BB0_3 Depth=1
	s_or_b64 exec, exec, s[12:13]
.LBB0_32:                               ;   in Loop: Header=BB0_3 Depth=1
	s_or_b64 exec, exec, s[10:11]
	s_mov_b32 s10, 0
                                        ; implicit-def: $vgpr7
.LBB0_33:                               ;   in Loop: Header=BB0_3 Depth=1
	s_or_saveexec_b64 s[0:1], s[0:1]
	v_mov_b32_e32 v22, s10
	s_xor_b64 exec, exec, s[0:1]
	s_cbranch_execz .LBB0_35
; %bb.34:                               ;   in Loop: Header=BB0_3 Depth=1
	flat_load_dwordx2 v[18:19], v[10:11]
	v_add_u32_e32 v22, -8, v7
	v_lshl_add_u64 v[10:11], v[10:11], 0, 8
	s_waitcnt vmcnt(0) lgkmcnt(0)
	v_and_b32_e32 v7, 0xff, v19
	v_and_b32_e32 v20, 0xff00, v19
	;; [unrolled: 1-line block ×4, first 2 shown]
	v_or_b32_e32 v7, v7, v20
	v_or3_b32 v18, v18, 0, 0
	v_or3_b32 v19, v7, v21, v19
.LBB0_35:                               ;   in Loop: Header=BB0_3 Depth=1
	s_or_b64 exec, exec, s[0:1]
	v_cmp_gt_u32_e32 vcc, 8, v22
                                        ; implicit-def: $sgpr10
	s_and_saveexec_b64 s[0:1], vcc
	s_xor_b64 s[0:1], exec, s[0:1]
	s_cbranch_execz .LBB0_41
; %bb.36:                               ;   in Loop: Header=BB0_3 Depth=1
	v_cmp_ne_u32_e32 vcc, 0, v22
	v_mov_b64_e32 v[20:21], 0
	s_and_saveexec_b64 s[10:11], vcc
	s_cbranch_execz .LBB0_40
; %bb.37:                               ;   in Loop: Header=BB0_3 Depth=1
	s_mov_b64 s[12:13], 0
	v_mov_b64_e32 v[20:21], 0
	s_mov_b64 s[14:15], 0
	s_mov_b64 s[16:17], 0
.LBB0_38:                               ;   Parent Loop BB0_3 Depth=1
                                        ; =>  This Inner Loop Header: Depth=2
	v_lshl_add_u64 v[24:25], v[10:11], 0, s[16:17]
	flat_load_ubyte v7, v[24:25]
	s_add_u32 s16, s16, 1
	v_mov_b32_e32 v25, s18
	s_addc_u32 s17, s17, 0
	v_cmp_eq_u32_e32 vcc, s16, v22
	s_waitcnt vmcnt(0) lgkmcnt(0)
	v_and_b32_e32 v24, 0xffff, v7
	v_lshlrev_b64 v[24:25], s14, v[24:25]
	s_add_u32 s14, s14, 8
	s_addc_u32 s15, s15, 0
	v_or_b32_e32 v21, v25, v21
	s_or_b64 s[12:13], vcc, s[12:13]
	v_or_b32_e32 v20, v24, v20
	s_andn2_b64 exec, exec, s[12:13]
	s_cbranch_execnz .LBB0_38
; %bb.39:                               ;   in Loop: Header=BB0_3 Depth=1
	s_or_b64 exec, exec, s[12:13]
.LBB0_40:                               ;   in Loop: Header=BB0_3 Depth=1
	s_or_b64 exec, exec, s[10:11]
	s_mov_b32 s10, 0
                                        ; implicit-def: $vgpr22
.LBB0_41:                               ;   in Loop: Header=BB0_3 Depth=1
	s_or_saveexec_b64 s[0:1], s[0:1]
	v_mov_b32_e32 v7, s10
	s_xor_b64 exec, exec, s[0:1]
	s_cbranch_execz .LBB0_43
; %bb.42:                               ;   in Loop: Header=BB0_3 Depth=1
	flat_load_dwordx2 v[20:21], v[10:11]
	v_add_u32_e32 v7, -8, v22
	v_lshl_add_u64 v[10:11], v[10:11], 0, 8
	s_waitcnt vmcnt(0) lgkmcnt(0)
	v_and_b32_e32 v22, 0xff, v21
	v_and_b32_e32 v23, 0xff00, v21
	;; [unrolled: 1-line block ×4, first 2 shown]
	v_or_b32_e32 v22, v22, v23
	v_or3_b32 v20, v20, 0, 0
	v_or3_b32 v21, v22, v24, v21
.LBB0_43:                               ;   in Loop: Header=BB0_3 Depth=1
	s_or_b64 exec, exec, s[0:1]
	v_cmp_gt_u32_e32 vcc, 8, v7
                                        ; implicit-def: $vgpr22_vgpr23
                                        ; implicit-def: $sgpr10
	s_and_saveexec_b64 s[0:1], vcc
	s_xor_b64 s[0:1], exec, s[0:1]
	s_cbranch_execz .LBB0_49
; %bb.44:                               ;   in Loop: Header=BB0_3 Depth=1
	v_cmp_ne_u32_e32 vcc, 0, v7
	v_mov_b64_e32 v[22:23], 0
	s_and_saveexec_b64 s[10:11], vcc
	s_cbranch_execz .LBB0_48
; %bb.45:                               ;   in Loop: Header=BB0_3 Depth=1
	s_mov_b64 s[12:13], 0
	v_mov_b64_e32 v[22:23], 0
	s_mov_b64 s[14:15], 0
	s_mov_b64 s[16:17], 0
.LBB0_46:                               ;   Parent Loop BB0_3 Depth=1
                                        ; =>  This Inner Loop Header: Depth=2
	v_lshl_add_u64 v[24:25], v[10:11], 0, s[16:17]
	flat_load_ubyte v24, v[24:25]
	s_add_u32 s16, s16, 1
	v_mov_b32_e32 v25, s18
	s_addc_u32 s17, s17, 0
	v_cmp_eq_u32_e32 vcc, s16, v7
	s_waitcnt vmcnt(0) lgkmcnt(0)
	v_and_b32_e32 v24, 0xffff, v24
	v_lshlrev_b64 v[24:25], s14, v[24:25]
	s_add_u32 s14, s14, 8
	s_addc_u32 s15, s15, 0
	v_or_b32_e32 v23, v25, v23
	s_or_b64 s[12:13], vcc, s[12:13]
	v_or_b32_e32 v22, v24, v22
	s_andn2_b64 exec, exec, s[12:13]
	s_cbranch_execnz .LBB0_46
; %bb.47:                               ;   in Loop: Header=BB0_3 Depth=1
	s_or_b64 exec, exec, s[12:13]
.LBB0_48:                               ;   in Loop: Header=BB0_3 Depth=1
	s_or_b64 exec, exec, s[10:11]
	s_mov_b32 s10, 0
                                        ; implicit-def: $vgpr7
.LBB0_49:                               ;   in Loop: Header=BB0_3 Depth=1
	s_or_saveexec_b64 s[0:1], s[0:1]
	v_mov_b32_e32 v26, s10
	s_xor_b64 exec, exec, s[0:1]
	s_cbranch_execz .LBB0_51
; %bb.50:                               ;   in Loop: Header=BB0_3 Depth=1
	flat_load_dwordx2 v[22:23], v[10:11]
	v_add_u32_e32 v26, -8, v7
	v_lshl_add_u64 v[10:11], v[10:11], 0, 8
	s_waitcnt vmcnt(0) lgkmcnt(0)
	v_and_b32_e32 v7, 0xff, v23
	v_and_b32_e32 v24, 0xff00, v23
	;; [unrolled: 1-line block ×4, first 2 shown]
	v_or_b32_e32 v7, v7, v24
	v_or3_b32 v22, v22, 0, 0
	v_or3_b32 v23, v7, v25, v23
.LBB0_51:                               ;   in Loop: Header=BB0_3 Depth=1
	s_or_b64 exec, exec, s[0:1]
	v_cmp_gt_u32_e32 vcc, 8, v26
	s_and_saveexec_b64 s[0:1], vcc
	s_xor_b64 s[0:1], exec, s[0:1]
	s_cbranch_execz .LBB0_57
; %bb.52:                               ;   in Loop: Header=BB0_3 Depth=1
	v_cmp_ne_u32_e32 vcc, 0, v26
	v_mov_b64_e32 v[24:25], 0
	s_and_saveexec_b64 s[10:11], vcc
	s_cbranch_execz .LBB0_56
; %bb.53:                               ;   in Loop: Header=BB0_3 Depth=1
	s_mov_b64 s[12:13], 0
	v_mov_b64_e32 v[24:25], 0
	s_mov_b64 s[14:15], 0
.LBB0_54:                               ;   Parent Loop BB0_3 Depth=1
                                        ; =>  This Inner Loop Header: Depth=2
	flat_load_ubyte v7, v[10:11]
	v_mov_b32_e32 v29, s18
	v_add_u32_e32 v26, -1, v26
	v_cmp_eq_u32_e32 vcc, 0, v26
	v_lshl_add_u64 v[10:11], v[10:11], 0, 1
	s_waitcnt vmcnt(0) lgkmcnt(0)
	v_and_b32_e32 v28, 0xffff, v7
	v_lshlrev_b64 v[28:29], s14, v[28:29]
	s_add_u32 s14, s14, 8
	s_addc_u32 s15, s15, 0
	v_or_b32_e32 v25, v29, v25
	s_or_b64 s[12:13], vcc, s[12:13]
	v_or_b32_e32 v24, v28, v24
	s_andn2_b64 exec, exec, s[12:13]
	s_cbranch_execnz .LBB0_54
; %bb.55:                               ;   in Loop: Header=BB0_3 Depth=1
	s_or_b64 exec, exec, s[12:13]
.LBB0_56:                               ;   in Loop: Header=BB0_3 Depth=1
	s_or_b64 exec, exec, s[10:11]
                                        ; implicit-def: $vgpr10_vgpr11
.LBB0_57:                               ;   in Loop: Header=BB0_3 Depth=1
	s_andn2_saveexec_b64 s[0:1], s[0:1]
	s_cbranch_execz .LBB0_59
; %bb.58:                               ;   in Loop: Header=BB0_3 Depth=1
	flat_load_dwordx2 v[10:11], v[10:11]
	s_waitcnt vmcnt(0) lgkmcnt(0)
	v_and_b32_e32 v7, 0xff, v11
	v_and_b32_e32 v24, 0xff00, v11
	v_and_b32_e32 v25, 0xff0000, v11
	v_and_b32_e32 v11, 0xff000000, v11
	v_or_b32_e32 v7, v7, v24
	v_or3_b32 v25, v7, v25, v11
	v_or3_b32 v24, v10, 0, 0
.LBB0_59:                               ;   in Loop: Header=BB0_3 Depth=1
	s_or_b64 exec, exec, s[0:1]
	v_readfirstlane_b32 s0, v32
	v_mov_b64_e32 v[10:11], 0
	s_nop 0
	v_cmp_eq_u32_e64 s[0:1], s0, v32
	s_and_saveexec_b64 s[10:11], s[0:1]
	s_cbranch_execz .LBB0_65
; %bb.60:                               ;   in Loop: Header=BB0_3 Depth=1
	s_waitcnt lgkmcnt(0)
	global_load_dwordx2 v[28:29], v31, s[6:7] offset:24 sc0 sc1
	s_waitcnt vmcnt(0)
	buffer_inv sc0 sc1
	global_load_dwordx2 v[10:11], v31, s[6:7] offset:40
	global_load_dwordx2 v[26:27], v31, s[6:7]
	s_waitcnt vmcnt(1)
	v_and_b32_e32 v7, v10, v28
	v_and_b32_e32 v10, v11, v29
	v_mul_lo_u32 v10, v10, 24
	v_mul_hi_u32 v11, v7, 24
	v_add_u32_e32 v11, v11, v10
	v_mul_lo_u32 v10, v7, 24
	s_waitcnt vmcnt(0)
	v_lshl_add_u64 v[10:11], v[26:27], 0, v[10:11]
	global_load_dwordx2 v[26:27], v[10:11], off sc0 sc1
	s_waitcnt vmcnt(0)
	global_atomic_cmpswap_x2 v[10:11], v31, v[26:29], s[6:7] offset:24 sc0 sc1
	s_waitcnt vmcnt(0)
	buffer_inv sc0 sc1
	v_cmp_ne_u64_e32 vcc, v[10:11], v[28:29]
	s_and_saveexec_b64 s[12:13], vcc
	s_cbranch_execz .LBB0_64
; %bb.61:                               ;   in Loop: Header=BB0_3 Depth=1
	s_mov_b64 s[14:15], 0
.LBB0_62:                               ;   Parent Loop BB0_3 Depth=1
                                        ; =>  This Inner Loop Header: Depth=2
	s_sleep 1
	global_load_dwordx2 v[26:27], v31, s[6:7] offset:40
	global_load_dwordx2 v[36:37], v31, s[6:7]
	v_mov_b64_e32 v[28:29], v[10:11]
	s_waitcnt vmcnt(1)
	v_and_b32_e32 v10, v26, v28
	s_waitcnt vmcnt(0)
	v_mad_u64_u32 v[10:11], s[16:17], v10, 24, v[36:37]
	v_and_b32_e32 v7, v27, v29
	v_mov_b32_e32 v26, v11
	v_mad_u64_u32 v[26:27], s[16:17], v7, 24, v[26:27]
	v_mov_b32_e32 v11, v26
	global_load_dwordx2 v[26:27], v[10:11], off sc0 sc1
	s_waitcnt vmcnt(0)
	global_atomic_cmpswap_x2 v[10:11], v31, v[26:29], s[6:7] offset:24 sc0 sc1
	s_waitcnt vmcnt(0)
	buffer_inv sc0 sc1
	v_cmp_eq_u64_e32 vcc, v[10:11], v[28:29]
	s_or_b64 s[14:15], vcc, s[14:15]
	s_andn2_b64 exec, exec, s[14:15]
	s_cbranch_execnz .LBB0_62
; %bb.63:                               ;   in Loop: Header=BB0_3 Depth=1
	s_or_b64 exec, exec, s[14:15]
.LBB0_64:                               ;   in Loop: Header=BB0_3 Depth=1
	s_or_b64 exec, exec, s[12:13]
.LBB0_65:                               ;   in Loop: Header=BB0_3 Depth=1
	s_or_b64 exec, exec, s[10:11]
	s_waitcnt lgkmcnt(0)
	global_load_dwordx2 v[36:37], v31, s[6:7] offset:40
	global_load_dwordx4 v[26:29], v31, s[6:7]
	v_readfirstlane_b32 s10, v10
	v_readfirstlane_b32 s11, v11
	s_mov_b64 s[12:13], exec
	s_waitcnt vmcnt(1)
	v_readfirstlane_b32 s14, v36
	v_readfirstlane_b32 s15, v37
	s_and_b64 s[14:15], s[10:11], s[14:15]
	s_mul_i32 s16, s15, 24
	s_mul_hi_u32 s17, s14, 24
	s_add_i32 s17, s17, s16
	s_mul_i32 s16, s14, 24
	s_waitcnt vmcnt(0)
	v_lshl_add_u64 v[36:37], v[26:27], 0, s[16:17]
	s_and_saveexec_b64 s[16:17], s[0:1]
	s_cbranch_execz .LBB0_67
; %bb.66:                               ;   in Loop: Header=BB0_3 Depth=1
	v_mov_b64_e32 v[10:11], s[12:13]
	global_store_dwordx4 v[36:37], v[10:13], off offset:8
.LBB0_67:                               ;   in Loop: Header=BB0_3 Depth=1
	s_or_b64 exec, exec, s[16:17]
	s_lshl_b64 s[12:13], s[14:15], 12
	v_or_b32_e32 v7, 0, v1
	v_cmp_lt_u64_e32 vcc, 56, v[4:5]
	v_lshl_add_u64 v[10:11], v[28:29], 0, s[12:13]
	v_or_b32_e32 v28, v0, v6
	v_cndmask_b32_e32 v1, v7, v1, vcc
	v_lshl_add_u32 v7, v34, 2, 28
	v_cndmask_b32_e32 v0, v28, v0, vcc
	v_and_b32_e32 v7, 0x1e0, v7
	v_and_or_b32 v0, v0, s19, v7
	v_lshlrev_b32_e32 v30, 6, v32
	v_readfirstlane_b32 s12, v10
	v_readfirstlane_b32 s13, v11
	s_nop 4
	global_store_dwordx4 v30, v[0:3], s[12:13]
	global_store_dwordx4 v30, v[14:17], s[12:13] offset:16
	global_store_dwordx4 v30, v[18:21], s[12:13] offset:32
	;; [unrolled: 1-line block ×3, first 2 shown]
	s_and_saveexec_b64 s[12:13], s[0:1]
	s_cbranch_execz .LBB0_75
; %bb.68:                               ;   in Loop: Header=BB0_3 Depth=1
	global_load_dwordx2 v[18:19], v31, s[6:7] offset:32 sc0 sc1
	global_load_dwordx2 v[0:1], v31, s[6:7] offset:40
	v_mov_b32_e32 v16, s10
	v_mov_b32_e32 v17, s11
	s_waitcnt vmcnt(0)
	v_readfirstlane_b32 s14, v0
	v_readfirstlane_b32 s15, v1
	s_and_b64 s[14:15], s[14:15], s[10:11]
	s_mul_i32 s15, s15, 24
	s_mul_hi_u32 s16, s14, 24
	s_mul_i32 s14, s14, 24
	s_add_i32 s15, s16, s15
	v_lshl_add_u64 v[14:15], v[26:27], 0, s[14:15]
	global_store_dwordx2 v[14:15], v[18:19], off
	buffer_wbl2 sc0 sc1
	s_waitcnt vmcnt(0)
	global_atomic_cmpswap_x2 v[2:3], v31, v[16:19], s[6:7] offset:32 sc0 sc1
	s_waitcnt vmcnt(0)
	v_cmp_ne_u64_e32 vcc, v[2:3], v[18:19]
	s_and_saveexec_b64 s[14:15], vcc
	s_cbranch_execz .LBB0_71
; %bb.69:                               ;   in Loop: Header=BB0_3 Depth=1
	s_mov_b64 s[16:17], 0
.LBB0_70:                               ;   Parent Loop BB0_3 Depth=1
                                        ; =>  This Inner Loop Header: Depth=2
	s_sleep 1
	global_store_dwordx2 v[14:15], v[2:3], off
	v_mov_b32_e32 v0, s10
	v_mov_b32_e32 v1, s11
	buffer_wbl2 sc0 sc1
	s_waitcnt vmcnt(0)
	global_atomic_cmpswap_x2 v[0:1], v31, v[0:3], s[6:7] offset:32 sc0 sc1
	s_waitcnt vmcnt(0)
	v_cmp_eq_u64_e32 vcc, v[0:1], v[2:3]
	s_or_b64 s[16:17], vcc, s[16:17]
	v_mov_b64_e32 v[2:3], v[0:1]
	s_andn2_b64 exec, exec, s[16:17]
	s_cbranch_execnz .LBB0_70
.LBB0_71:                               ;   in Loop: Header=BB0_3 Depth=1
	s_or_b64 exec, exec, s[14:15]
	global_load_dwordx2 v[0:1], v31, s[6:7] offset:16
	s_mov_b64 s[16:17], exec
	v_mbcnt_lo_u32_b32 v2, s16, 0
	v_mbcnt_hi_u32_b32 v2, s17, v2
	v_cmp_eq_u32_e32 vcc, 0, v2
	s_and_saveexec_b64 s[14:15], vcc
	s_cbranch_execz .LBB0_73
; %bb.72:                               ;   in Loop: Header=BB0_3 Depth=1
	s_bcnt1_i32_b64 s16, s[16:17]
	v_mov_b32_e32 v2, s16
	v_mov_b32_e32 v3, v31
	buffer_wbl2 sc0 sc1
	s_waitcnt vmcnt(0)
	global_atomic_add_x2 v[0:1], v[2:3], off offset:8 sc1
.LBB0_73:                               ;   in Loop: Header=BB0_3 Depth=1
	s_or_b64 exec, exec, s[14:15]
	s_waitcnt vmcnt(0)
	global_load_dwordx2 v[2:3], v[0:1], off offset:16
	s_waitcnt vmcnt(0)
	v_cmp_eq_u64_e32 vcc, 0, v[2:3]
	s_cbranch_vccnz .LBB0_75
; %bb.74:                               ;   in Loop: Header=BB0_3 Depth=1
	global_load_dword v0, v[0:1], off offset:24
	v_mov_b32_e32 v1, v31
	buffer_wbl2 sc0 sc1
	s_waitcnt vmcnt(0)
	global_store_dwordx2 v[2:3], v[0:1], off sc0 sc1
	v_and_b32_e32 v0, 0xffffff, v0
	s_nop 0
	v_readfirstlane_b32 m0, v0
	s_sendmsg sendmsg(MSG_INTERRUPT)
.LBB0_75:                               ;   in Loop: Header=BB0_3 Depth=1
	s_or_b64 exec, exec, s[12:13]
	v_lshl_add_u64 v[0:1], v[10:11], 0, v[30:31]
	s_branch .LBB0_79
.LBB0_76:                               ;   in Loop: Header=BB0_79 Depth=2
	s_or_b64 exec, exec, s[12:13]
	v_readfirstlane_b32 s12, v2
	s_cmp_eq_u32 s12, 0
	s_cbranch_scc1 .LBB0_78
; %bb.77:                               ;   in Loop: Header=BB0_79 Depth=2
	s_sleep 1
	s_cbranch_execnz .LBB0_79
	s_branch .LBB0_81
.LBB0_78:                               ;   in Loop: Header=BB0_3 Depth=1
	s_branch .LBB0_81
.LBB0_79:                               ;   Parent Loop BB0_3 Depth=1
                                        ; =>  This Inner Loop Header: Depth=2
	v_mov_b32_e32 v2, 1
	s_and_saveexec_b64 s[12:13], s[0:1]
	s_cbranch_execz .LBB0_76
; %bb.80:                               ;   in Loop: Header=BB0_79 Depth=2
	global_load_dword v2, v[36:37], off offset:20 sc0 sc1
	s_waitcnt vmcnt(0)
	buffer_inv sc0 sc1
	v_and_b32_e32 v2, 1, v2
	s_branch .LBB0_76
.LBB0_81:                               ;   in Loop: Header=BB0_3 Depth=1
	global_load_dwordx4 v[0:3], v[0:1], off
	s_and_saveexec_b64 s[12:13], s[0:1]
	s_cbranch_execz .LBB0_2
; %bb.82:                               ;   in Loop: Header=BB0_3 Depth=1
	global_load_dwordx2 v[2:3], v31, s[6:7] offset:40
	global_load_dwordx2 v[10:11], v31, s[6:7] offset:24 sc0 sc1
	global_load_dwordx2 v[18:19], v31, s[6:7]
	s_waitcnt vmcnt(2)
	v_lshl_add_u64 v[14:15], v[2:3], 0, 1
	v_lshl_add_u64 v[20:21], v[14:15], 0, s[10:11]
	v_cmp_eq_u64_e32 vcc, 0, v[20:21]
	s_waitcnt vmcnt(1)
	v_mov_b32_e32 v16, v10
	v_mov_b32_e32 v17, v11
	v_cndmask_b32_e32 v15, v21, v15, vcc
	v_cndmask_b32_e32 v14, v20, v14, vcc
	v_and_b32_e32 v3, v15, v3
	v_and_b32_e32 v2, v14, v2
	v_mul_lo_u32 v3, v3, 24
	v_mul_hi_u32 v7, v2, 24
	v_mul_lo_u32 v2, v2, 24
	v_add_u32_e32 v3, v7, v3
	s_waitcnt vmcnt(0)
	v_lshl_add_u64 v[2:3], v[18:19], 0, v[2:3]
	global_store_dwordx2 v[2:3], v[10:11], off
	buffer_wbl2 sc0 sc1
	s_waitcnt vmcnt(0)
	global_atomic_cmpswap_x2 v[16:17], v31, v[14:17], s[6:7] offset:24 sc0 sc1
	s_waitcnt vmcnt(0)
	v_cmp_ne_u64_e32 vcc, v[16:17], v[10:11]
	s_and_b64 exec, exec, vcc
	s_cbranch_execz .LBB0_2
; %bb.83:                               ;   in Loop: Header=BB0_3 Depth=1
	s_mov_b64 s[0:1], 0
.LBB0_84:                               ;   Parent Loop BB0_3 Depth=1
                                        ; =>  This Inner Loop Header: Depth=2
	s_sleep 1
	global_store_dwordx2 v[2:3], v[16:17], off
	buffer_wbl2 sc0 sc1
	s_waitcnt vmcnt(0)
	global_atomic_cmpswap_x2 v[10:11], v31, v[14:17], s[6:7] offset:24 sc0 sc1
	s_waitcnt vmcnt(0)
	v_cmp_eq_u64_e32 vcc, v[10:11], v[16:17]
	s_or_b64 s[0:1], vcc, s[0:1]
	v_mov_b64_e32 v[16:17], v[10:11]
	s_andn2_b64 exec, exec, s[0:1]
	s_cbranch_execnz .LBB0_84
	s_branch .LBB0_2
.LBB0_85:
	s_or_b64 exec, exec, s[2:3]
                                        ; implicit-def: $vgpr0
                                        ; implicit-def: $vgpr1
                                        ; implicit-def: $vgpr2
.LBB0_86:
	s_andn2_saveexec_b64 s[2:3], s[4:5]
	s_cbranch_execz .LBB0_109
; %bb.87:
	s_load_dwordx2 s[4:5], s[8:9], 0x50
	s_waitcnt vmcnt(0)
	v_mbcnt_hi_u32_b32 v3, -1, v2
	v_mov_b64_e32 v[8:9], 0
	v_readfirstlane_b32 s0, v3
	s_nop 1
	v_cmp_eq_u32_e64 s[0:1], s0, v3
	s_and_saveexec_b64 s[6:7], s[0:1]
	s_cbranch_execz .LBB0_93
; %bb.88:
	v_mov_b32_e32 v2, 0
	s_waitcnt lgkmcnt(0)
	global_load_dwordx2 v[6:7], v2, s[4:5] offset:24 sc0 sc1
	s_waitcnt vmcnt(0)
	buffer_inv sc0 sc1
	global_load_dwordx2 v[4:5], v2, s[4:5] offset:40
	global_load_dwordx2 v[8:9], v2, s[4:5]
	s_waitcnt vmcnt(1)
	v_and_b32_e32 v4, v4, v6
	v_and_b32_e32 v5, v5, v7
	v_mul_lo_u32 v5, v5, 24
	v_mul_hi_u32 v10, v4, 24
	v_add_u32_e32 v5, v10, v5
	v_mul_lo_u32 v4, v4, 24
	s_waitcnt vmcnt(0)
	v_lshl_add_u64 v[4:5], v[8:9], 0, v[4:5]
	global_load_dwordx2 v[4:5], v[4:5], off sc0 sc1
	s_waitcnt vmcnt(0)
	global_atomic_cmpswap_x2 v[8:9], v2, v[4:7], s[4:5] offset:24 sc0 sc1
	s_waitcnt vmcnt(0)
	buffer_inv sc0 sc1
	v_cmp_ne_u64_e32 vcc, v[8:9], v[6:7]
	s_and_saveexec_b64 s[8:9], vcc
	s_cbranch_execz .LBB0_92
; %bb.89:
	s_mov_b64 s[10:11], 0
.LBB0_90:                               ; =>This Inner Loop Header: Depth=1
	s_sleep 1
	global_load_dwordx2 v[4:5], v2, s[4:5] offset:40
	global_load_dwordx2 v[10:11], v2, s[4:5]
	v_mov_b64_e32 v[6:7], v[8:9]
	s_waitcnt vmcnt(1)
	v_and_b32_e32 v4, v4, v6
	v_and_b32_e32 v9, v5, v7
	s_waitcnt vmcnt(0)
	v_mad_u64_u32 v[4:5], s[12:13], v4, 24, v[10:11]
	v_mov_b32_e32 v8, v5
	v_mad_u64_u32 v[8:9], s[12:13], v9, 24, v[8:9]
	v_mov_b32_e32 v5, v8
	global_load_dwordx2 v[4:5], v[4:5], off sc0 sc1
	s_waitcnt vmcnt(0)
	global_atomic_cmpswap_x2 v[8:9], v2, v[4:7], s[4:5] offset:24 sc0 sc1
	s_waitcnt vmcnt(0)
	buffer_inv sc0 sc1
	v_cmp_eq_u64_e32 vcc, v[8:9], v[6:7]
	s_or_b64 s[10:11], vcc, s[10:11]
	s_andn2_b64 exec, exec, s[10:11]
	s_cbranch_execnz .LBB0_90
; %bb.91:
	s_or_b64 exec, exec, s[10:11]
.LBB0_92:
	s_or_b64 exec, exec, s[8:9]
.LBB0_93:
	s_or_b64 exec, exec, s[6:7]
	v_mov_b32_e32 v2, 0
	s_waitcnt lgkmcnt(0)
	global_load_dwordx2 v[10:11], v2, s[4:5] offset:40
	global_load_dwordx4 v[4:7], v2, s[4:5]
	v_readfirstlane_b32 s6, v8
	v_readfirstlane_b32 s7, v9
	s_mov_b64 s[8:9], exec
	s_waitcnt vmcnt(1)
	v_readfirstlane_b32 s10, v10
	v_readfirstlane_b32 s11, v11
	s_and_b64 s[10:11], s[6:7], s[10:11]
	s_mul_i32 s12, s11, 24
	s_mul_hi_u32 s13, s10, 24
	s_add_i32 s13, s13, s12
	s_mul_i32 s12, s10, 24
	s_waitcnt vmcnt(0)
	v_lshl_add_u64 v[8:9], v[4:5], 0, s[12:13]
	s_and_saveexec_b64 s[12:13], s[0:1]
	s_cbranch_execz .LBB0_95
; %bb.94:
	v_mov_b64_e32 v[10:11], s[8:9]
	v_mov_b32_e32 v12, 2
	v_mov_b32_e32 v13, 1
	global_store_dwordx4 v[8:9], v[10:13], off offset:8
.LBB0_95:
	s_or_b64 exec, exec, s[12:13]
	s_lshl_b64 s[8:9], s[10:11], 12
	v_lshl_add_u64 v[6:7], v[6:7], 0, s[8:9]
	s_movk_i32 s8, 0xff1f
	v_and_or_b32 v0, v0, s8, 32
	s_mov_b32 s8, 0
	v_lshlrev_b32_e32 v10, 6, v3
	v_mov_b32_e32 v3, v2
	v_readfirstlane_b32 s12, v6
	v_readfirstlane_b32 s13, v7
	s_mov_b32 s9, s8
	s_mov_b32 s10, s8
	s_mov_b32 s11, s8
	s_nop 1
	global_store_dwordx4 v10, v[0:3], s[12:13]
	s_nop 1
	v_mov_b64_e32 v[0:1], s[8:9]
	v_mov_b64_e32 v[2:3], s[10:11]
	global_store_dwordx4 v10, v[0:3], s[12:13] offset:16
	global_store_dwordx4 v10, v[0:3], s[12:13] offset:32
	;; [unrolled: 1-line block ×3, first 2 shown]
	s_and_saveexec_b64 s[8:9], s[0:1]
	s_cbranch_execz .LBB0_103
; %bb.96:
	v_mov_b32_e32 v6, 0
	global_load_dwordx2 v[12:13], v6, s[4:5] offset:32 sc0 sc1
	global_load_dwordx2 v[0:1], v6, s[4:5] offset:40
	v_mov_b32_e32 v10, s6
	v_mov_b32_e32 v11, s7
	s_waitcnt vmcnt(0)
	v_and_b32_e32 v0, s6, v0
	v_and_b32_e32 v1, s7, v1
	v_mul_lo_u32 v1, v1, 24
	v_mul_hi_u32 v2, v0, 24
	v_mul_lo_u32 v0, v0, 24
	v_add_u32_e32 v1, v2, v1
	v_lshl_add_u64 v[4:5], v[4:5], 0, v[0:1]
	global_store_dwordx2 v[4:5], v[12:13], off
	buffer_wbl2 sc0 sc1
	s_waitcnt vmcnt(0)
	global_atomic_cmpswap_x2 v[2:3], v6, v[10:13], s[4:5] offset:32 sc0 sc1
	s_waitcnt vmcnt(0)
	v_cmp_ne_u64_e32 vcc, v[2:3], v[12:13]
	s_and_saveexec_b64 s[10:11], vcc
	s_cbranch_execz .LBB0_99
; %bb.97:
	s_mov_b64 s[12:13], 0
.LBB0_98:                               ; =>This Inner Loop Header: Depth=1
	s_sleep 1
	global_store_dwordx2 v[4:5], v[2:3], off
	v_mov_b32_e32 v0, s6
	v_mov_b32_e32 v1, s7
	buffer_wbl2 sc0 sc1
	s_waitcnt vmcnt(0)
	global_atomic_cmpswap_x2 v[0:1], v6, v[0:3], s[4:5] offset:32 sc0 sc1
	s_waitcnt vmcnt(0)
	v_cmp_eq_u64_e32 vcc, v[0:1], v[2:3]
	s_or_b64 s[12:13], vcc, s[12:13]
	v_mov_b64_e32 v[2:3], v[0:1]
	s_andn2_b64 exec, exec, s[12:13]
	s_cbranch_execnz .LBB0_98
.LBB0_99:
	s_or_b64 exec, exec, s[10:11]
	v_mov_b32_e32 v3, 0
	global_load_dwordx2 v[0:1], v3, s[4:5] offset:16
	s_mov_b64 s[10:11], exec
	v_mbcnt_lo_u32_b32 v2, s10, 0
	v_mbcnt_hi_u32_b32 v2, s11, v2
	v_cmp_eq_u32_e32 vcc, 0, v2
	s_and_saveexec_b64 s[12:13], vcc
	s_cbranch_execz .LBB0_101
; %bb.100:
	s_bcnt1_i32_b64 s10, s[10:11]
	v_mov_b32_e32 v2, s10
	buffer_wbl2 sc0 sc1
	s_waitcnt vmcnt(0)
	global_atomic_add_x2 v[0:1], v[2:3], off offset:8 sc1
.LBB0_101:
	s_or_b64 exec, exec, s[12:13]
	s_waitcnt vmcnt(0)
	global_load_dwordx2 v[2:3], v[0:1], off offset:16
	s_waitcnt vmcnt(0)
	v_cmp_eq_u64_e32 vcc, 0, v[2:3]
	s_cbranch_vccnz .LBB0_103
; %bb.102:
	global_load_dword v0, v[0:1], off offset:24
	v_mov_b32_e32 v1, 0
	buffer_wbl2 sc0 sc1
	s_waitcnt vmcnt(0)
	global_store_dwordx2 v[2:3], v[0:1], off sc0 sc1
	v_and_b32_e32 v0, 0xffffff, v0
	s_nop 0
	v_readfirstlane_b32 m0, v0
	s_sendmsg sendmsg(MSG_INTERRUPT)
.LBB0_103:
	s_or_b64 exec, exec, s[8:9]
	s_branch .LBB0_107
.LBB0_104:                              ;   in Loop: Header=BB0_107 Depth=1
	s_or_b64 exec, exec, s[8:9]
	v_readfirstlane_b32 s8, v0
	s_cmp_eq_u32 s8, 0
	s_cbranch_scc1 .LBB0_106
; %bb.105:                              ;   in Loop: Header=BB0_107 Depth=1
	s_sleep 1
	s_cbranch_execnz .LBB0_107
	s_branch .LBB0_110
.LBB0_106:
	s_branch .LBB0_110
.LBB0_107:                              ; =>This Inner Loop Header: Depth=1
	v_mov_b32_e32 v0, 1
	s_and_saveexec_b64 s[8:9], s[0:1]
	s_cbranch_execz .LBB0_104
; %bb.108:                              ;   in Loop: Header=BB0_107 Depth=1
	global_load_dword v0, v[8:9], off offset:20 sc0 sc1
	s_waitcnt vmcnt(0)
	buffer_inv sc0 sc1
	v_and_b32_e32 v0, 1, v0
	s_branch .LBB0_104
.LBB0_109:
	s_or_b64 exec, exec, s[2:3]
	s_waitcnt vmcnt(0) lgkmcnt(0)
	s_setpc_b64 s[30:31]
.LBB0_110:
	s_and_saveexec_b64 s[8:9], s[0:1]
	s_cbranch_execz .LBB0_113
; %bb.111:
	v_mov_b32_e32 v6, 0
	global_load_dwordx2 v[4:5], v6, s[4:5] offset:40
	global_load_dwordx2 v[8:9], v6, s[4:5] offset:24 sc0 sc1
	global_load_dwordx2 v[10:11], v6, s[4:5]
	s_mov_b64 s[0:1], 0
	s_waitcnt vmcnt(2)
	v_lshl_add_u64 v[0:1], v[4:5], 0, 1
	v_lshl_add_u64 v[12:13], v[0:1], 0, s[6:7]
	v_cmp_eq_u64_e32 vcc, 0, v[12:13]
	s_waitcnt vmcnt(1)
	v_mov_b32_e32 v2, v8
	v_cndmask_b32_e32 v1, v13, v1, vcc
	v_cndmask_b32_e32 v0, v12, v0, vcc
	v_and_b32_e32 v3, v1, v5
	v_and_b32_e32 v4, v0, v4
	v_mul_lo_u32 v3, v3, 24
	v_mul_hi_u32 v5, v4, 24
	v_mul_lo_u32 v4, v4, 24
	v_add_u32_e32 v5, v5, v3
	s_waitcnt vmcnt(0)
	v_lshl_add_u64 v[4:5], v[10:11], 0, v[4:5]
	global_store_dwordx2 v[4:5], v[8:9], off
	v_mov_b32_e32 v3, v9
	buffer_wbl2 sc0 sc1
	s_waitcnt vmcnt(0)
	global_atomic_cmpswap_x2 v[2:3], v6, v[0:3], s[4:5] offset:24 sc0 sc1
	s_waitcnt vmcnt(0)
	v_cmp_ne_u64_e32 vcc, v[2:3], v[8:9]
	s_and_b64 exec, exec, vcc
	s_cbranch_execz .LBB0_113
.LBB0_112:                              ; =>This Inner Loop Header: Depth=1
	s_sleep 1
	global_store_dwordx2 v[4:5], v[2:3], off
	buffer_wbl2 sc0 sc1
	s_waitcnt vmcnt(0)
	global_atomic_cmpswap_x2 v[8:9], v6, v[0:3], s[4:5] offset:24 sc0 sc1
	s_waitcnt vmcnt(0)
	v_cmp_eq_u64_e32 vcc, v[8:9], v[2:3]
	s_or_b64 s[0:1], vcc, s[0:1]
	v_mov_b64_e32 v[2:3], v[8:9]
	s_andn2_b64 exec, exec, s[0:1]
	s_cbranch_execnz .LBB0_112
.LBB0_113:
	s_or_b64 exec, exec, s[8:9]
	s_or_b64 exec, exec, s[2:3]
	s_waitcnt vmcnt(0) lgkmcnt(0)
	s_setpc_b64 s[30:31]
.Lfunc_end0:
	.size	__ockl_fprintf_append_string_n, .Lfunc_end0-__ockl_fprintf_append_string_n
                                        ; -- End function
	.section	.AMDGPU.csdata,"",@progbits
; Function info:
; codeLenInByte = 4188
; NumSgprs: 38
; NumVgprs: 38
; NumAgprs: 0
; TotalNumVgprs: 38
; ScratchSize: 0
; MemoryBound: 0
	.text
	.p2align	2                               ; -- Begin function __assert_fail
	.type	__assert_fail,@function
__assert_fail:                          ; @__assert_fail
; %bb.0:
	s_waitcnt vmcnt(0) expcnt(0) lgkmcnt(0)
	s_mov_b32 s20, s33
	s_mov_b32 s33, s32
	s_xor_saveexec_b64 s[0:1], -1
	scratch_store_dword off, v39, s33 offset:48 ; 4-byte Folded Spill
	s_mov_b64 exec, s[0:1]
	v_writelane_b32 v39, s30, 0
	s_add_i32 s32, s32, 64
	s_nop 0
	v_writelane_b32 v39, s31, 1
	s_getpc_b64 s[0:1]
	s_add_u32 s0, s0, __const.__assert_fail.fmt@rel32@lo+4
	s_addc_u32 s1, s1, __const.__assert_fail.fmt@rel32@hi+12
	s_load_dwordx4 s[0:3], s[0:1], 0x0
	s_getpc_b64 s[4:5]
	s_add_u32 s4, s4, __const.__assert_fail.fmt@rel32@lo+20
	s_addc_u32 s5, s5, __const.__assert_fail.fmt@rel32@hi+28
	s_load_dwordx4 s[4:7], s[4:5], 0x0
	v_mov_b32_e32 v4, v0
	v_mov_b32_e32 v0, 0xa2e
	;; [unrolled: 1-line block ×3, first 2 shown]
	scratch_store_short off, v0, s33 offset:44
	s_waitcnt lgkmcnt(0)
	v_mov_b64_e32 v[0:1], s[0:1]
	v_mov_b64_e32 v[2:3], s[2:3]
	scratch_store_dwordx4 off, v[0:3], s33
	s_load_dwordx2 s[2:3], s[8:9], 0x50
	v_mov_b32_e32 v8, 0
	v_mov_b64_e32 v[0:1], s[4:5]
	v_mov_b64_e32 v[2:3], s[6:7]
	scratch_store_dwordx4 off, v[0:3], s33 offset:16
	v_mov_b64_e32 v[6:7], 0
	scratch_store_byte off, v8, s33 offset:46
	v_mov_b32_e32 v0, 0x73256020
	v_mov_b32_e32 v1, 0x61662027
	;; [unrolled: 1-line block ×3, first 2 shown]
	scratch_store_dwordx3 off, v[0:2], s33 offset:32
	s_nop 1
	v_mbcnt_lo_u32_b32 v0, -1, 0
	v_mbcnt_hi_u32_b32 v38, -1, v0
	s_nop 0
	v_readfirstlane_b32 s0, v38
	s_nop 1
	v_cmp_eq_u32_e64 s[0:1], s0, v38
	s_and_saveexec_b64 s[4:5], s[0:1]
	s_cbranch_execz .LBB1_6
; %bb.1:
	s_waitcnt lgkmcnt(0)
	global_load_dwordx2 v[2:3], v8, s[2:3] offset:24 sc0 sc1
	s_waitcnt vmcnt(0)
	buffer_inv sc0 sc1
	global_load_dwordx2 v[0:1], v8, s[2:3] offset:40
	global_load_dwordx2 v[6:7], v8, s[2:3]
	s_waitcnt vmcnt(1)
	v_and_b32_e32 v0, v0, v2
	v_and_b32_e32 v1, v1, v3
	v_mul_lo_u32 v1, v1, 24
	v_mul_hi_u32 v9, v0, 24
	v_add_u32_e32 v1, v9, v1
	v_mul_lo_u32 v0, v0, 24
	s_waitcnt vmcnt(0)
	v_lshl_add_u64 v[0:1], v[6:7], 0, v[0:1]
	global_load_dwordx2 v[0:1], v[0:1], off sc0 sc1
	s_waitcnt vmcnt(0)
	global_atomic_cmpswap_x2 v[6:7], v8, v[0:3], s[2:3] offset:24 sc0 sc1
	s_waitcnt vmcnt(0)
	buffer_inv sc0 sc1
	v_cmp_ne_u64_e32 vcc, v[6:7], v[2:3]
	s_and_saveexec_b64 s[6:7], vcc
	s_cbranch_execz .LBB1_5
; %bb.2:
	s_mov_b64 s[10:11], 0
.LBB1_3:                                ; =>This Inner Loop Header: Depth=1
	s_sleep 1
	global_load_dwordx2 v[0:1], v8, s[2:3] offset:40
	global_load_dwordx2 v[10:11], v8, s[2:3]
	v_mov_b64_e32 v[2:3], v[6:7]
	s_waitcnt vmcnt(1)
	v_and_b32_e32 v0, v0, v2
	v_and_b32_e32 v7, v1, v3
	s_waitcnt vmcnt(0)
	v_mad_u64_u32 v[0:1], s[12:13], v0, 24, v[10:11]
	v_mov_b32_e32 v6, v1
	v_mad_u64_u32 v[6:7], s[12:13], v7, 24, v[6:7]
	v_mov_b32_e32 v1, v6
	global_load_dwordx2 v[0:1], v[0:1], off sc0 sc1
	s_waitcnt vmcnt(0)
	global_atomic_cmpswap_x2 v[6:7], v8, v[0:3], s[2:3] offset:24 sc0 sc1
	s_waitcnt vmcnt(0)
	buffer_inv sc0 sc1
	v_cmp_eq_u64_e32 vcc, v[6:7], v[2:3]
	s_or_b64 s[10:11], vcc, s[10:11]
	s_andn2_b64 exec, exec, s[10:11]
	s_cbranch_execnz .LBB1_3
; %bb.4:
	s_or_b64 exec, exec, s[10:11]
.LBB1_5:
	s_or_b64 exec, exec, s[6:7]
.LBB1_6:
	s_or_b64 exec, exec, s[4:5]
	s_waitcnt lgkmcnt(0)
	global_load_dwordx2 v[10:11], v8, s[2:3] offset:40
	global_load_dwordx4 v[0:3], v8, s[2:3]
	v_readfirstlane_b32 s4, v6
	v_readfirstlane_b32 s5, v7
	s_mov_b64 s[6:7], exec
	s_waitcnt vmcnt(1)
	v_readfirstlane_b32 s10, v10
	v_readfirstlane_b32 s11, v11
	s_and_b64 s[10:11], s[4:5], s[10:11]
	s_mul_i32 s12, s11, 24
	s_mul_hi_u32 s13, s10, 24
	s_add_i32 s13, s13, s12
	s_mul_i32 s12, s10, 24
	s_waitcnt vmcnt(0)
	v_lshl_add_u64 v[6:7], v[0:1], 0, s[12:13]
	s_and_saveexec_b64 s[12:13], s[0:1]
	s_cbranch_execz .LBB1_8
; %bb.7:
	v_mov_b64_e32 v[8:9], s[6:7]
	v_mov_b32_e32 v10, 2
	v_mov_b32_e32 v11, 1
	global_store_dwordx4 v[6:7], v[8:11], off offset:8
.LBB1_8:
	s_or_b64 exec, exec, s[12:13]
	s_lshl_b64 s[6:7], s[10:11], 12
	v_lshl_add_u64 v[8:9], v[2:3], 0, s[6:7]
	s_mov_b32 s12, 0
	v_mov_b32_e32 v33, 0
	v_lshlrev_b32_e32 v32, 6, v38
	v_mov_b32_e32 v10, 33
	v_mov_b32_e32 v12, 1
	;; [unrolled: 1-line block ×4, first 2 shown]
	v_readfirstlane_b32 s6, v8
	v_readfirstlane_b32 s7, v9
	s_mov_b32 s13, s12
	s_mov_b32 s14, s12
	;; [unrolled: 1-line block ×3, first 2 shown]
	s_nop 1
	global_store_dwordx4 v32, v[10:13], s[6:7]
	s_nop 1
	v_mov_b64_e32 v[10:11], s[12:13]
	v_mov_b64_e32 v[12:13], s[14:15]
	global_store_dwordx4 v32, v[10:13], s[6:7] offset:16
	global_store_dwordx4 v32, v[10:13], s[6:7] offset:32
	;; [unrolled: 1-line block ×3, first 2 shown]
	s_and_saveexec_b64 s[6:7], s[0:1]
	s_cbranch_execz .LBB1_16
; %bb.9:
	global_load_dwordx2 v[14:15], v33, s[2:3] offset:32 sc0 sc1
	global_load_dwordx2 v[2:3], v33, s[2:3] offset:40
	v_mov_b32_e32 v12, s4
	v_mov_b32_e32 v13, s5
	s_waitcnt vmcnt(0)
	v_and_b32_e32 v2, s4, v2
	v_and_b32_e32 v3, s5, v3
	v_mul_lo_u32 v3, v3, 24
	v_mul_hi_u32 v10, v2, 24
	v_mul_lo_u32 v2, v2, 24
	v_add_u32_e32 v3, v10, v3
	v_lshl_add_u64 v[10:11], v[0:1], 0, v[2:3]
	global_store_dwordx2 v[10:11], v[14:15], off
	buffer_wbl2 sc0 sc1
	s_waitcnt vmcnt(0)
	global_atomic_cmpswap_x2 v[2:3], v33, v[12:15], s[2:3] offset:32 sc0 sc1
	s_waitcnt vmcnt(0)
	v_cmp_ne_u64_e32 vcc, v[2:3], v[14:15]
	s_and_saveexec_b64 s[10:11], vcc
	s_cbranch_execz .LBB1_12
; %bb.10:
	s_mov_b64 s[12:13], 0
.LBB1_11:                               ; =>This Inner Loop Header: Depth=1
	s_sleep 1
	global_store_dwordx2 v[10:11], v[2:3], off
	v_mov_b32_e32 v0, s4
	v_mov_b32_e32 v1, s5
	buffer_wbl2 sc0 sc1
	s_waitcnt vmcnt(0)
	global_atomic_cmpswap_x2 v[0:1], v33, v[0:3], s[2:3] offset:32 sc0 sc1
	s_waitcnt vmcnt(0)
	v_cmp_eq_u64_e32 vcc, v[0:1], v[2:3]
	s_or_b64 s[12:13], vcc, s[12:13]
	v_mov_b64_e32 v[2:3], v[0:1]
	s_andn2_b64 exec, exec, s[12:13]
	s_cbranch_execnz .LBB1_11
.LBB1_12:
	s_or_b64 exec, exec, s[10:11]
	v_mov_b32_e32 v3, 0
	global_load_dwordx2 v[0:1], v3, s[2:3] offset:16
	s_mov_b64 s[10:11], exec
	v_mbcnt_lo_u32_b32 v2, s10, 0
	v_mbcnt_hi_u32_b32 v2, s11, v2
	v_cmp_eq_u32_e32 vcc, 0, v2
	s_and_saveexec_b64 s[12:13], vcc
	s_cbranch_execz .LBB1_14
; %bb.13:
	s_bcnt1_i32_b64 s10, s[10:11]
	v_mov_b32_e32 v2, s10
	buffer_wbl2 sc0 sc1
	s_waitcnt vmcnt(0)
	global_atomic_add_x2 v[0:1], v[2:3], off offset:8 sc1
.LBB1_14:
	s_or_b64 exec, exec, s[12:13]
	s_waitcnt vmcnt(0)
	global_load_dwordx2 v[2:3], v[0:1], off offset:16
	s_waitcnt vmcnt(0)
	v_cmp_eq_u64_e32 vcc, 0, v[2:3]
	s_cbranch_vccnz .LBB1_16
; %bb.15:
	global_load_dword v0, v[0:1], off offset:24
	v_mov_b32_e32 v1, 0
	buffer_wbl2 sc0 sc1
	s_waitcnt vmcnt(0)
	global_store_dwordx2 v[2:3], v[0:1], off sc0 sc1
	v_and_b32_e32 v0, 0xffffff, v0
	s_nop 0
	v_readfirstlane_b32 m0, v0
	s_sendmsg sendmsg(MSG_INTERRUPT)
.LBB1_16:
	s_or_b64 exec, exec, s[6:7]
	v_lshl_add_u64 v[0:1], v[8:9], 0, v[32:33]
	s_branch .LBB1_20
.LBB1_17:                               ;   in Loop: Header=BB1_20 Depth=1
	s_or_b64 exec, exec, s[6:7]
	v_readfirstlane_b32 s6, v2
	s_cmp_eq_u32 s6, 0
	s_cbranch_scc1 .LBB1_19
; %bb.18:                               ;   in Loop: Header=BB1_20 Depth=1
	s_sleep 1
	s_cbranch_execnz .LBB1_20
	s_branch .LBB1_22
.LBB1_19:
	s_branch .LBB1_22
.LBB1_20:                               ; =>This Inner Loop Header: Depth=1
	v_mov_b32_e32 v2, 1
	s_and_saveexec_b64 s[6:7], s[0:1]
	s_cbranch_execz .LBB1_17
; %bb.21:                               ;   in Loop: Header=BB1_20 Depth=1
	global_load_dword v2, v[6:7], off offset:20 sc0 sc1
	s_waitcnt vmcnt(0)
	buffer_inv sc0 sc1
	v_and_b32_e32 v2, 1, v2
	s_branch .LBB1_17
.LBB1_22:
	global_load_dwordx2 v[6:7], v[0:1], off
	s_and_saveexec_b64 s[6:7], s[0:1]
	s_cbranch_execz .LBB1_25
; %bb.23:
	v_mov_b32_e32 v10, 0
	global_load_dwordx2 v[8:9], v10, s[2:3] offset:40
	global_load_dwordx2 v[12:13], v10, s[2:3] offset:24 sc0 sc1
	global_load_dwordx2 v[14:15], v10, s[2:3]
	s_mov_b64 s[0:1], 0
	s_waitcnt vmcnt(2)
	v_lshl_add_u64 v[0:1], v[8:9], 0, 1
	v_lshl_add_u64 v[16:17], v[0:1], 0, s[4:5]
	v_cmp_eq_u64_e32 vcc, 0, v[16:17]
	s_waitcnt vmcnt(1)
	v_mov_b32_e32 v2, v12
	v_cndmask_b32_e32 v1, v17, v1, vcc
	v_cndmask_b32_e32 v0, v16, v0, vcc
	v_and_b32_e32 v3, v1, v9
	v_and_b32_e32 v8, v0, v8
	v_mul_lo_u32 v3, v3, 24
	v_mul_hi_u32 v9, v8, 24
	v_mul_lo_u32 v8, v8, 24
	v_add_u32_e32 v9, v9, v3
	s_waitcnt vmcnt(0)
	v_lshl_add_u64 v[8:9], v[14:15], 0, v[8:9]
	global_store_dwordx2 v[8:9], v[12:13], off
	v_mov_b32_e32 v3, v13
	buffer_wbl2 sc0 sc1
	s_waitcnt vmcnt(0)
	global_atomic_cmpswap_x2 v[2:3], v10, v[0:3], s[2:3] offset:24 sc0 sc1
	s_waitcnt vmcnt(0)
	v_cmp_ne_u64_e32 vcc, v[2:3], v[12:13]
	s_and_b64 exec, exec, vcc
	s_cbranch_execz .LBB1_25
.LBB1_24:                               ; =>This Inner Loop Header: Depth=1
	s_sleep 1
	global_store_dwordx2 v[8:9], v[2:3], off
	buffer_wbl2 sc0 sc1
	s_waitcnt vmcnt(0)
	global_atomic_cmpswap_x2 v[12:13], v10, v[0:3], s[2:3] offset:24 sc0 sc1
	s_waitcnt vmcnt(0)
	v_cmp_eq_u64_e32 vcc, v[12:13], v[2:3]
	s_or_b64 s[0:1], vcc, s[0:1]
	v_mov_b64_e32 v[2:3], v[12:13]
	s_andn2_b64 exec, exec, s[0:1]
	s_cbranch_execnz .LBB1_24
.LBB1_25:
	s_or_b64 exec, exec, s[6:7]
	v_mov_b32_e32 v1, s33
	s_mov_b64 s[0:1], 0
.LBB1_26:                               ; =>This Inner Loop Header: Depth=1
	scratch_load_ubyte v2, v1, off
	v_add_u32_e32 v0, 1, v1
	v_mov_b32_e32 v1, v0
	s_waitcnt vmcnt(0)
	v_cmp_eq_u16_e32 vcc, 0, v2
	s_or_b64 s[0:1], vcc, s[0:1]
	s_andn2_b64 exec, exec, s[0:1]
	s_cbranch_execnz .LBB1_26
; %bb.27:
	s_or_b64 exec, exec, s[0:1]
	v_mov_b32_e32 v31, s33
	v_cmp_ne_u32_e32 vcc, -1, v31
	s_cbranch_vccz .LBB1_112
; %bb.28:
	v_subrev_u32_e32 v28, s33, v0
	v_ashrrev_i32_e32 v29, 31, v28
	v_and_b32_e32 v30, 2, v6
	v_mov_b32_e32 v33, 0
	v_and_b32_e32 v0, -3, v6
	v_mov_b32_e32 v1, v7
	s_mov_b64 s[4:5], 0
	s_mov_b32 s16, 0
	s_movk_i32 s17, 0xff1f
	v_mov_b32_e32 v10, 2
	v_mov_b32_e32 v11, 1
	s_branch .LBB1_30
.LBB1_29:                               ;   in Loop: Header=BB1_30 Depth=1
	s_or_b64 exec, exec, s[10:11]
	v_sub_co_u32_e32 v28, vcc, v28, v34
	v_add_u32_e32 v31, v31, v34
	s_nop 0
	v_subb_co_u32_e32 v29, vcc, v29, v35, vcc
	v_cmp_eq_u64_e32 vcc, 0, v[28:29]
	s_or_b64 s[4:5], vcc, s[4:5]
	s_andn2_b64 exec, exec, s[4:5]
	s_cbranch_execz .LBB1_113
.LBB1_30:                               ; =>This Loop Header: Depth=1
                                        ;     Child Loop BB1_33 Depth 2
                                        ;     Child Loop BB1_41 Depth 2
	;; [unrolled: 1-line block ×11, first 2 shown]
	v_cmp_gt_u64_e32 vcc, 56, v[28:29]
                                        ; implicit-def: $vgpr2_vgpr3
                                        ; implicit-def: $sgpr6
	s_nop 1
	v_cndmask_b32_e32 v35, 0, v29, vcc
	v_cndmask_b32_e32 v34, 56, v28, vcc
	v_cmp_gt_u64_e32 vcc, 8, v[28:29]
	s_and_saveexec_b64 s[0:1], vcc
	s_xor_b64 s[0:1], exec, s[0:1]
	s_cbranch_execz .LBB1_36
; %bb.31:                               ;   in Loop: Header=BB1_30 Depth=1
	s_mov_b64 s[10:11], 0
	v_cmp_ne_u64_e32 vcc, 0, v[28:29]
	s_waitcnt vmcnt(0)
	v_mov_b64_e32 v[2:3], 0
	s_and_saveexec_b64 s[6:7], vcc
	s_cbranch_execz .LBB1_35
; %bb.32:                               ;   in Loop: Header=BB1_30 Depth=1
	v_lshlrev_b64 v[8:9], 3, v[34:35]
	v_mov_b64_e32 v[2:3], 0
	s_mov_b64 s[12:13], 0
	v_mov_b32_e32 v9, v31
.LBB1_33:                               ;   Parent Loop BB1_30 Depth=1
                                        ; =>  This Inner Loop Header: Depth=2
	scratch_load_ubyte v12, v9, off
	v_mov_b32_e32 v13, s16
	v_add_u32_e32 v9, 1, v9
	s_waitcnt vmcnt(0)
	v_and_b32_e32 v12, 0xffff, v12
	v_lshlrev_b64 v[12:13], s12, v[12:13]
	s_add_u32 s12, s12, 8
	s_addc_u32 s13, s13, 0
	v_cmp_eq_u32_e32 vcc, s12, v8
	v_or_b32_e32 v3, v13, v3
	s_or_b64 s[10:11], vcc, s[10:11]
	v_or_b32_e32 v2, v12, v2
	s_andn2_b64 exec, exec, s[10:11]
	s_cbranch_execnz .LBB1_33
; %bb.34:                               ;   in Loop: Header=BB1_30 Depth=1
	s_or_b64 exec, exec, s[10:11]
.LBB1_35:                               ;   in Loop: Header=BB1_30 Depth=1
	s_or_b64 exec, exec, s[6:7]
	s_mov_b32 s6, 0
.LBB1_36:                               ;   in Loop: Header=BB1_30 Depth=1
	s_or_saveexec_b64 s[0:1], s[0:1]
	v_mov_b32_e32 v9, s6
	v_mov_b32_e32 v8, v31
	s_xor_b64 exec, exec, s[0:1]
	s_cbranch_execz .LBB1_38
; %bb.37:                               ;   in Loop: Header=BB1_30 Depth=1
	scratch_load_dwordx2 v[2:3], v31, off
	v_add_u32_e32 v9, -8, v34
	s_waitcnt vmcnt(0)
	v_and_b32_e32 v8, 0xff, v3
	v_and_b32_e32 v12, 0xff00, v3
	v_and_b32_e32 v13, 0xff0000, v3
	v_and_b32_e32 v3, 0xff000000, v3
	v_or_b32_e32 v8, v8, v12
	v_or3_b32 v2, v2, 0, 0
	v_or3_b32 v3, v8, v13, v3
	v_add_u32_e32 v8, 8, v31
.LBB1_38:                               ;   in Loop: Header=BB1_30 Depth=1
	s_or_b64 exec, exec, s[0:1]
	v_cmp_gt_u32_e32 vcc, 8, v9
                                        ; implicit-def: $vgpr12_vgpr13
                                        ; implicit-def: $sgpr6
	s_and_saveexec_b64 s[0:1], vcc
	s_xor_b64 s[0:1], exec, s[0:1]
	s_cbranch_execz .LBB1_44
; %bb.39:                               ;   in Loop: Header=BB1_30 Depth=1
	v_cmp_ne_u32_e32 vcc, 0, v9
	v_mov_b64_e32 v[12:13], 0
	s_and_saveexec_b64 s[6:7], vcc
	s_cbranch_execz .LBB1_43
; %bb.40:                               ;   in Loop: Header=BB1_30 Depth=1
	s_mov_b32 s14, 0
	s_mov_b64 s[10:11], 0
	v_mov_b64_e32 v[12:13], 0
	s_mov_b64 s[12:13], 0
.LBB1_41:                               ;   Parent Loop BB1_30 Depth=1
                                        ; =>  This Inner Loop Header: Depth=2
	v_add_u32_e32 v14, s14, v8
	scratch_load_ubyte v14, v14, off
	v_mov_b32_e32 v15, s16
	s_add_i32 s14, s14, 1
	v_cmp_eq_u32_e32 vcc, s14, v9
	s_waitcnt vmcnt(0)
	v_and_b32_e32 v14, 0xffff, v14
	v_lshlrev_b64 v[14:15], s12, v[14:15]
	s_add_u32 s12, s12, 8
	s_addc_u32 s13, s13, 0
	v_or_b32_e32 v13, v15, v13
	s_or_b64 s[10:11], vcc, s[10:11]
	v_or_b32_e32 v12, v14, v12
	s_andn2_b64 exec, exec, s[10:11]
	s_cbranch_execnz .LBB1_41
; %bb.42:                               ;   in Loop: Header=BB1_30 Depth=1
	s_or_b64 exec, exec, s[10:11]
.LBB1_43:                               ;   in Loop: Header=BB1_30 Depth=1
	s_or_b64 exec, exec, s[6:7]
	s_mov_b32 s6, 0
                                        ; implicit-def: $vgpr9
.LBB1_44:                               ;   in Loop: Header=BB1_30 Depth=1
	s_or_saveexec_b64 s[0:1], s[0:1]
	v_mov_b32_e32 v16, s6
	s_xor_b64 exec, exec, s[0:1]
	s_cbranch_execz .LBB1_46
; %bb.45:                               ;   in Loop: Header=BB1_30 Depth=1
	scratch_load_dwordx2 v[12:13], v8, off
	v_add_u32_e32 v16, -8, v9
	v_add_u32_e32 v8, 8, v8
	s_waitcnt vmcnt(0)
	v_and_b32_e32 v9, 0xff, v13
	v_and_b32_e32 v14, 0xff00, v13
	;; [unrolled: 1-line block ×4, first 2 shown]
	v_or_b32_e32 v9, v9, v14
	v_or3_b32 v12, v12, 0, 0
	v_or3_b32 v13, v9, v15, v13
.LBB1_46:                               ;   in Loop: Header=BB1_30 Depth=1
	s_or_b64 exec, exec, s[0:1]
	v_cmp_gt_u32_e32 vcc, 8, v16
                                        ; implicit-def: $sgpr6
	s_and_saveexec_b64 s[0:1], vcc
	s_xor_b64 s[0:1], exec, s[0:1]
	s_cbranch_execz .LBB1_52
; %bb.47:                               ;   in Loop: Header=BB1_30 Depth=1
	v_cmp_ne_u32_e32 vcc, 0, v16
	v_mov_b64_e32 v[14:15], 0
	s_and_saveexec_b64 s[6:7], vcc
	s_cbranch_execz .LBB1_51
; %bb.48:                               ;   in Loop: Header=BB1_30 Depth=1
	s_mov_b32 s14, 0
	s_mov_b64 s[10:11], 0
	v_mov_b64_e32 v[14:15], 0
	s_mov_b64 s[12:13], 0
.LBB1_49:                               ;   Parent Loop BB1_30 Depth=1
                                        ; =>  This Inner Loop Header: Depth=2
	v_add_u32_e32 v9, s14, v8
	scratch_load_ubyte v9, v9, off
	v_mov_b32_e32 v19, s16
	s_add_i32 s14, s14, 1
	v_cmp_eq_u32_e32 vcc, s14, v16
	s_waitcnt vmcnt(0)
	v_and_b32_e32 v18, 0xffff, v9
	v_lshlrev_b64 v[18:19], s12, v[18:19]
	s_add_u32 s12, s12, 8
	s_addc_u32 s13, s13, 0
	v_or_b32_e32 v15, v19, v15
	s_or_b64 s[10:11], vcc, s[10:11]
	v_or_b32_e32 v14, v18, v14
	s_andn2_b64 exec, exec, s[10:11]
	s_cbranch_execnz .LBB1_49
; %bb.50:                               ;   in Loop: Header=BB1_30 Depth=1
	s_or_b64 exec, exec, s[10:11]
.LBB1_51:                               ;   in Loop: Header=BB1_30 Depth=1
	s_or_b64 exec, exec, s[6:7]
	s_mov_b32 s6, 0
                                        ; implicit-def: $vgpr16
.LBB1_52:                               ;   in Loop: Header=BB1_30 Depth=1
	s_or_saveexec_b64 s[0:1], s[0:1]
	v_mov_b32_e32 v9, s6
	s_xor_b64 exec, exec, s[0:1]
	s_cbranch_execz .LBB1_54
; %bb.53:                               ;   in Loop: Header=BB1_30 Depth=1
	scratch_load_dwordx2 v[14:15], v8, off
	v_add_u32_e32 v9, -8, v16
	v_add_u32_e32 v8, 8, v8
	s_waitcnt vmcnt(0)
	v_and_b32_e32 v16, 0xff, v15
	v_and_b32_e32 v17, 0xff00, v15
	;; [unrolled: 1-line block ×4, first 2 shown]
	v_or_b32_e32 v16, v16, v17
	v_or3_b32 v14, v14, 0, 0
	v_or3_b32 v15, v16, v18, v15
.LBB1_54:                               ;   in Loop: Header=BB1_30 Depth=1
	s_or_b64 exec, exec, s[0:1]
	v_cmp_gt_u32_e32 vcc, 8, v9
                                        ; implicit-def: $vgpr16_vgpr17
                                        ; implicit-def: $sgpr6
	s_and_saveexec_b64 s[0:1], vcc
	s_xor_b64 s[0:1], exec, s[0:1]
	s_cbranch_execz .LBB1_60
; %bb.55:                               ;   in Loop: Header=BB1_30 Depth=1
	v_cmp_ne_u32_e32 vcc, 0, v9
	v_mov_b64_e32 v[16:17], 0
	s_and_saveexec_b64 s[6:7], vcc
	s_cbranch_execz .LBB1_59
; %bb.56:                               ;   in Loop: Header=BB1_30 Depth=1
	s_mov_b32 s14, 0
	s_mov_b64 s[10:11], 0
	v_mov_b64_e32 v[16:17], 0
	s_mov_b64 s[12:13], 0
.LBB1_57:                               ;   Parent Loop BB1_30 Depth=1
                                        ; =>  This Inner Loop Header: Depth=2
	v_add_u32_e32 v18, s14, v8
	scratch_load_ubyte v18, v18, off
	v_mov_b32_e32 v19, s16
	s_add_i32 s14, s14, 1
	v_cmp_eq_u32_e32 vcc, s14, v9
	s_waitcnt vmcnt(0)
	v_and_b32_e32 v18, 0xffff, v18
	v_lshlrev_b64 v[18:19], s12, v[18:19]
	s_add_u32 s12, s12, 8
	s_addc_u32 s13, s13, 0
	v_or_b32_e32 v17, v19, v17
	s_or_b64 s[10:11], vcc, s[10:11]
	v_or_b32_e32 v16, v18, v16
	s_andn2_b64 exec, exec, s[10:11]
	s_cbranch_execnz .LBB1_57
; %bb.58:                               ;   in Loop: Header=BB1_30 Depth=1
	s_or_b64 exec, exec, s[10:11]
.LBB1_59:                               ;   in Loop: Header=BB1_30 Depth=1
	s_or_b64 exec, exec, s[6:7]
	s_mov_b32 s6, 0
                                        ; implicit-def: $vgpr9
.LBB1_60:                               ;   in Loop: Header=BB1_30 Depth=1
	s_or_saveexec_b64 s[0:1], s[0:1]
	v_mov_b32_e32 v20, s6
	s_xor_b64 exec, exec, s[0:1]
	s_cbranch_execz .LBB1_62
; %bb.61:                               ;   in Loop: Header=BB1_30 Depth=1
	scratch_load_dwordx2 v[16:17], v8, off
	v_add_u32_e32 v20, -8, v9
	v_add_u32_e32 v8, 8, v8
	s_waitcnt vmcnt(0)
	v_and_b32_e32 v9, 0xff, v17
	v_and_b32_e32 v18, 0xff00, v17
	;; [unrolled: 1-line block ×4, first 2 shown]
	v_or_b32_e32 v9, v9, v18
	v_or3_b32 v16, v16, 0, 0
	v_or3_b32 v17, v9, v19, v17
.LBB1_62:                               ;   in Loop: Header=BB1_30 Depth=1
	s_or_b64 exec, exec, s[0:1]
	v_cmp_gt_u32_e32 vcc, 8, v20
                                        ; implicit-def: $sgpr6
	s_and_saveexec_b64 s[0:1], vcc
	s_xor_b64 s[0:1], exec, s[0:1]
	s_cbranch_execz .LBB1_68
; %bb.63:                               ;   in Loop: Header=BB1_30 Depth=1
	v_cmp_ne_u32_e32 vcc, 0, v20
	v_mov_b64_e32 v[18:19], 0
	s_and_saveexec_b64 s[6:7], vcc
	s_cbranch_execz .LBB1_67
; %bb.64:                               ;   in Loop: Header=BB1_30 Depth=1
	s_mov_b32 s14, 0
	s_mov_b64 s[10:11], 0
	v_mov_b64_e32 v[18:19], 0
	s_mov_b64 s[12:13], 0
.LBB1_65:                               ;   Parent Loop BB1_30 Depth=1
                                        ; =>  This Inner Loop Header: Depth=2
	v_add_u32_e32 v9, s14, v8
	scratch_load_ubyte v9, v9, off
	v_mov_b32_e32 v23, s16
	s_add_i32 s14, s14, 1
	v_cmp_eq_u32_e32 vcc, s14, v20
	s_waitcnt vmcnt(0)
	v_and_b32_e32 v22, 0xffff, v9
	v_lshlrev_b64 v[22:23], s12, v[22:23]
	s_add_u32 s12, s12, 8
	s_addc_u32 s13, s13, 0
	v_or_b32_e32 v19, v23, v19
	s_or_b64 s[10:11], vcc, s[10:11]
	v_or_b32_e32 v18, v22, v18
	s_andn2_b64 exec, exec, s[10:11]
	s_cbranch_execnz .LBB1_65
; %bb.66:                               ;   in Loop: Header=BB1_30 Depth=1
	s_or_b64 exec, exec, s[10:11]
.LBB1_67:                               ;   in Loop: Header=BB1_30 Depth=1
	s_or_b64 exec, exec, s[6:7]
	s_mov_b32 s6, 0
                                        ; implicit-def: $vgpr20
.LBB1_68:                               ;   in Loop: Header=BB1_30 Depth=1
	s_or_saveexec_b64 s[0:1], s[0:1]
	v_mov_b32_e32 v9, s6
	s_xor_b64 exec, exec, s[0:1]
	s_cbranch_execz .LBB1_70
; %bb.69:                               ;   in Loop: Header=BB1_30 Depth=1
	scratch_load_dwordx2 v[18:19], v8, off
	v_add_u32_e32 v9, -8, v20
	v_add_u32_e32 v8, 8, v8
	s_waitcnt vmcnt(0)
	v_and_b32_e32 v20, 0xff, v19
	v_and_b32_e32 v21, 0xff00, v19
	v_and_b32_e32 v22, 0xff0000, v19
	v_and_b32_e32 v19, 0xff000000, v19
	v_or_b32_e32 v20, v20, v21
	v_or3_b32 v18, v18, 0, 0
	v_or3_b32 v19, v20, v22, v19
.LBB1_70:                               ;   in Loop: Header=BB1_30 Depth=1
	s_or_b64 exec, exec, s[0:1]
	v_cmp_gt_u32_e32 vcc, 8, v9
                                        ; implicit-def: $vgpr20_vgpr21
                                        ; implicit-def: $sgpr6
	s_and_saveexec_b64 s[0:1], vcc
	s_xor_b64 s[0:1], exec, s[0:1]
	s_cbranch_execz .LBB1_76
; %bb.71:                               ;   in Loop: Header=BB1_30 Depth=1
	v_cmp_ne_u32_e32 vcc, 0, v9
	v_mov_b64_e32 v[20:21], 0
	s_and_saveexec_b64 s[6:7], vcc
	s_cbranch_execz .LBB1_75
; %bb.72:                               ;   in Loop: Header=BB1_30 Depth=1
	s_mov_b32 s14, 0
	s_mov_b64 s[10:11], 0
	v_mov_b64_e32 v[20:21], 0
	s_mov_b64 s[12:13], 0
.LBB1_73:                               ;   Parent Loop BB1_30 Depth=1
                                        ; =>  This Inner Loop Header: Depth=2
	v_add_u32_e32 v22, s14, v8
	scratch_load_ubyte v22, v22, off
	v_mov_b32_e32 v23, s16
	s_add_i32 s14, s14, 1
	v_cmp_eq_u32_e32 vcc, s14, v9
	s_waitcnt vmcnt(0)
	v_and_b32_e32 v22, 0xffff, v22
	v_lshlrev_b64 v[22:23], s12, v[22:23]
	s_add_u32 s12, s12, 8
	s_addc_u32 s13, s13, 0
	v_or_b32_e32 v21, v23, v21
	s_or_b64 s[10:11], vcc, s[10:11]
	v_or_b32_e32 v20, v22, v20
	s_andn2_b64 exec, exec, s[10:11]
	s_cbranch_execnz .LBB1_73
; %bb.74:                               ;   in Loop: Header=BB1_30 Depth=1
	s_or_b64 exec, exec, s[10:11]
.LBB1_75:                               ;   in Loop: Header=BB1_30 Depth=1
	s_or_b64 exec, exec, s[6:7]
	s_mov_b32 s6, 0
                                        ; implicit-def: $vgpr9
.LBB1_76:                               ;   in Loop: Header=BB1_30 Depth=1
	s_or_saveexec_b64 s[0:1], s[0:1]
	v_mov_b32_e32 v24, s6
	s_xor_b64 exec, exec, s[0:1]
	s_cbranch_execz .LBB1_78
; %bb.77:                               ;   in Loop: Header=BB1_30 Depth=1
	scratch_load_dwordx2 v[20:21], v8, off
	v_add_u32_e32 v24, -8, v9
	v_add_u32_e32 v8, 8, v8
	s_waitcnt vmcnt(0)
	v_and_b32_e32 v9, 0xff, v21
	v_and_b32_e32 v22, 0xff00, v21
	;; [unrolled: 1-line block ×4, first 2 shown]
	v_or_b32_e32 v9, v9, v22
	v_or3_b32 v20, v20, 0, 0
	v_or3_b32 v21, v9, v23, v21
.LBB1_78:                               ;   in Loop: Header=BB1_30 Depth=1
	s_or_b64 exec, exec, s[0:1]
	v_cmp_gt_u32_e32 vcc, 8, v24
	s_and_saveexec_b64 s[0:1], vcc
	s_xor_b64 s[0:1], exec, s[0:1]
	s_cbranch_execz .LBB1_84
; %bb.79:                               ;   in Loop: Header=BB1_30 Depth=1
	v_cmp_ne_u32_e32 vcc, 0, v24
	v_mov_b64_e32 v[22:23], 0
	s_and_saveexec_b64 s[6:7], vcc
	s_cbranch_execz .LBB1_83
; %bb.80:                               ;   in Loop: Header=BB1_30 Depth=1
	s_mov_b64 s[10:11], 0
	v_mov_b64_e32 v[22:23], 0
	s_mov_b64 s[12:13], 0
.LBB1_81:                               ;   Parent Loop BB1_30 Depth=1
                                        ; =>  This Inner Loop Header: Depth=2
	scratch_load_ubyte v9, v8, off
	v_mov_b32_e32 v27, s16
	v_add_u32_e32 v24, -1, v24
	v_cmp_eq_u32_e32 vcc, 0, v24
	v_add_u32_e32 v8, 1, v8
	s_waitcnt vmcnt(0)
	v_and_b32_e32 v26, 0xffff, v9
	v_lshlrev_b64 v[26:27], s12, v[26:27]
	s_add_u32 s12, s12, 8
	s_addc_u32 s13, s13, 0
	v_or_b32_e32 v23, v27, v23
	s_or_b64 s[10:11], vcc, s[10:11]
	v_or_b32_e32 v22, v26, v22
	s_andn2_b64 exec, exec, s[10:11]
	s_cbranch_execnz .LBB1_81
; %bb.82:                               ;   in Loop: Header=BB1_30 Depth=1
	s_or_b64 exec, exec, s[10:11]
.LBB1_83:                               ;   in Loop: Header=BB1_30 Depth=1
	s_or_b64 exec, exec, s[6:7]
                                        ; implicit-def: $vgpr8
.LBB1_84:                               ;   in Loop: Header=BB1_30 Depth=1
	s_andn2_saveexec_b64 s[0:1], s[0:1]
	s_cbranch_execz .LBB1_86
; %bb.85:                               ;   in Loop: Header=BB1_30 Depth=1
	scratch_load_dwordx2 v[8:9], v8, off
	s_waitcnt vmcnt(0)
	v_and_b32_e32 v22, 0xff, v9
	v_and_b32_e32 v23, 0xff00, v9
	;; [unrolled: 1-line block ×4, first 2 shown]
	v_or_b32_e32 v22, v22, v23
	v_or3_b32 v23, v22, v24, v9
	v_or3_b32 v22, v8, 0, 0
.LBB1_86:                               ;   in Loop: Header=BB1_30 Depth=1
	s_or_b64 exec, exec, s[0:1]
	v_readfirstlane_b32 s0, v38
	v_mov_b64_e32 v[8:9], 0
	s_nop 0
	v_cmp_eq_u32_e64 s[0:1], s0, v38
	s_and_saveexec_b64 s[6:7], s[0:1]
	s_cbranch_execz .LBB1_92
; %bb.87:                               ;   in Loop: Header=BB1_30 Depth=1
	global_load_dwordx2 v[26:27], v33, s[2:3] offset:24 sc0 sc1
	s_waitcnt vmcnt(0)
	buffer_inv sc0 sc1
	global_load_dwordx2 v[8:9], v33, s[2:3] offset:40
	global_load_dwordx2 v[24:25], v33, s[2:3]
	s_waitcnt vmcnt(1)
	v_and_b32_e32 v8, v8, v26
	v_and_b32_e32 v9, v9, v27
	v_mul_lo_u32 v9, v9, 24
	v_mul_hi_u32 v36, v8, 24
	v_add_u32_e32 v9, v36, v9
	v_mul_lo_u32 v8, v8, 24
	s_waitcnt vmcnt(0)
	v_lshl_add_u64 v[8:9], v[24:25], 0, v[8:9]
	global_load_dwordx2 v[24:25], v[8:9], off sc0 sc1
	s_waitcnt vmcnt(0)
	global_atomic_cmpswap_x2 v[8:9], v33, v[24:27], s[2:3] offset:24 sc0 sc1
	s_waitcnt vmcnt(0)
	buffer_inv sc0 sc1
	v_cmp_ne_u64_e32 vcc, v[8:9], v[26:27]
	s_and_saveexec_b64 s[10:11], vcc
	s_cbranch_execz .LBB1_91
; %bb.88:                               ;   in Loop: Header=BB1_30 Depth=1
	s_mov_b64 s[12:13], 0
.LBB1_89:                               ;   Parent Loop BB1_30 Depth=1
                                        ; =>  This Inner Loop Header: Depth=2
	s_sleep 1
	global_load_dwordx2 v[24:25], v33, s[2:3] offset:40
	global_load_dwordx2 v[36:37], v33, s[2:3]
	v_mov_b64_e32 v[26:27], v[8:9]
	s_waitcnt vmcnt(1)
	v_and_b32_e32 v8, v24, v26
	s_waitcnt vmcnt(0)
	v_mad_u64_u32 v[8:9], s[14:15], v8, 24, v[36:37]
	v_and_b32_e32 v25, v25, v27
	v_mov_b32_e32 v24, v9
	v_mad_u64_u32 v[24:25], s[14:15], v25, 24, v[24:25]
	v_mov_b32_e32 v9, v24
	global_load_dwordx2 v[24:25], v[8:9], off sc0 sc1
	s_waitcnt vmcnt(0)
	global_atomic_cmpswap_x2 v[8:9], v33, v[24:27], s[2:3] offset:24 sc0 sc1
	s_waitcnt vmcnt(0)
	buffer_inv sc0 sc1
	v_cmp_eq_u64_e32 vcc, v[8:9], v[26:27]
	s_or_b64 s[12:13], vcc, s[12:13]
	s_andn2_b64 exec, exec, s[12:13]
	s_cbranch_execnz .LBB1_89
; %bb.90:                               ;   in Loop: Header=BB1_30 Depth=1
	s_or_b64 exec, exec, s[12:13]
.LBB1_91:                               ;   in Loop: Header=BB1_30 Depth=1
	s_or_b64 exec, exec, s[10:11]
.LBB1_92:                               ;   in Loop: Header=BB1_30 Depth=1
	s_or_b64 exec, exec, s[6:7]
	global_load_dwordx2 v[36:37], v33, s[2:3] offset:40
	global_load_dwordx4 v[24:27], v33, s[2:3]
	v_readfirstlane_b32 s6, v8
	v_readfirstlane_b32 s7, v9
	s_mov_b64 s[10:11], exec
	s_waitcnt vmcnt(1)
	v_readfirstlane_b32 s12, v36
	v_readfirstlane_b32 s13, v37
	s_and_b64 s[12:13], s[6:7], s[12:13]
	s_mul_i32 s14, s13, 24
	s_mul_hi_u32 s15, s12, 24
	s_add_i32 s15, s15, s14
	s_mul_i32 s14, s12, 24
	s_waitcnt vmcnt(0)
	v_lshl_add_u64 v[36:37], v[24:25], 0, s[14:15]
	s_and_saveexec_b64 s[14:15], s[0:1]
	s_cbranch_execz .LBB1_94
; %bb.93:                               ;   in Loop: Header=BB1_30 Depth=1
	v_mov_b64_e32 v[8:9], s[10:11]
	global_store_dwordx4 v[36:37], v[8:11], off offset:8
.LBB1_94:                               ;   in Loop: Header=BB1_30 Depth=1
	s_or_b64 exec, exec, s[14:15]
	s_lshl_b64 s[10:11], s[12:13], 12
	v_lshl_add_u64 v[8:9], v[26:27], 0, s[10:11]
	v_or_b32_e32 v26, 0, v1
	v_cmp_lt_u64_e32 vcc, 56, v[28:29]
	v_or_b32_e32 v27, v0, v30
	v_readfirstlane_b32 s10, v8
	v_cndmask_b32_e32 v1, v26, v1, vcc
	v_lshl_add_u32 v26, v34, 2, 28
	v_cndmask_b32_e32 v0, v27, v0, vcc
	v_and_b32_e32 v26, 0x1e0, v26
	v_and_or_b32 v0, v0, s17, v26
	v_readfirstlane_b32 s11, v9
	s_nop 4
	global_store_dwordx4 v32, v[0:3], s[10:11]
	global_store_dwordx4 v32, v[12:15], s[10:11] offset:16
	global_store_dwordx4 v32, v[16:19], s[10:11] offset:32
	;; [unrolled: 1-line block ×3, first 2 shown]
	s_and_saveexec_b64 s[10:11], s[0:1]
	s_cbranch_execz .LBB1_102
; %bb.95:                               ;   in Loop: Header=BB1_30 Depth=1
	global_load_dwordx2 v[16:17], v33, s[2:3] offset:32 sc0 sc1
	global_load_dwordx2 v[0:1], v33, s[2:3] offset:40
	v_mov_b32_e32 v14, s6
	v_mov_b32_e32 v15, s7
	s_waitcnt vmcnt(0)
	v_readfirstlane_b32 s12, v0
	v_readfirstlane_b32 s13, v1
	s_and_b64 s[12:13], s[12:13], s[6:7]
	s_mul_i32 s13, s13, 24
	s_mul_hi_u32 s14, s12, 24
	s_mul_i32 s12, s12, 24
	s_add_i32 s13, s14, s13
	v_lshl_add_u64 v[12:13], v[24:25], 0, s[12:13]
	global_store_dwordx2 v[12:13], v[16:17], off
	buffer_wbl2 sc0 sc1
	s_waitcnt vmcnt(0)
	global_atomic_cmpswap_x2 v[2:3], v33, v[14:17], s[2:3] offset:32 sc0 sc1
	s_waitcnt vmcnt(0)
	v_cmp_ne_u64_e32 vcc, v[2:3], v[16:17]
	s_and_saveexec_b64 s[12:13], vcc
	s_cbranch_execz .LBB1_98
; %bb.96:                               ;   in Loop: Header=BB1_30 Depth=1
	s_mov_b64 s[14:15], 0
.LBB1_97:                               ;   Parent Loop BB1_30 Depth=1
                                        ; =>  This Inner Loop Header: Depth=2
	s_sleep 1
	global_store_dwordx2 v[12:13], v[2:3], off
	v_mov_b32_e32 v0, s6
	v_mov_b32_e32 v1, s7
	buffer_wbl2 sc0 sc1
	s_waitcnt vmcnt(0)
	global_atomic_cmpswap_x2 v[0:1], v33, v[0:3], s[2:3] offset:32 sc0 sc1
	s_waitcnt vmcnt(0)
	v_cmp_eq_u64_e32 vcc, v[0:1], v[2:3]
	s_or_b64 s[14:15], vcc, s[14:15]
	v_mov_b64_e32 v[2:3], v[0:1]
	s_andn2_b64 exec, exec, s[14:15]
	s_cbranch_execnz .LBB1_97
.LBB1_98:                               ;   in Loop: Header=BB1_30 Depth=1
	s_or_b64 exec, exec, s[12:13]
	global_load_dwordx2 v[0:1], v33, s[2:3] offset:16
	s_mov_b64 s[14:15], exec
	v_mbcnt_lo_u32_b32 v2, s14, 0
	v_mbcnt_hi_u32_b32 v2, s15, v2
	v_cmp_eq_u32_e32 vcc, 0, v2
	s_and_saveexec_b64 s[12:13], vcc
	s_cbranch_execz .LBB1_100
; %bb.99:                               ;   in Loop: Header=BB1_30 Depth=1
	s_bcnt1_i32_b64 s14, s[14:15]
	v_mov_b32_e32 v2, s14
	v_mov_b32_e32 v3, v33
	buffer_wbl2 sc0 sc1
	s_waitcnt vmcnt(0)
	global_atomic_add_x2 v[0:1], v[2:3], off offset:8 sc1
.LBB1_100:                              ;   in Loop: Header=BB1_30 Depth=1
	s_or_b64 exec, exec, s[12:13]
	s_waitcnt vmcnt(0)
	global_load_dwordx2 v[2:3], v[0:1], off offset:16
	s_waitcnt vmcnt(0)
	v_cmp_eq_u64_e32 vcc, 0, v[2:3]
	s_cbranch_vccnz .LBB1_102
; %bb.101:                              ;   in Loop: Header=BB1_30 Depth=1
	global_load_dword v0, v[0:1], off offset:24
	v_mov_b32_e32 v1, v33
	buffer_wbl2 sc0 sc1
	s_waitcnt vmcnt(0)
	global_store_dwordx2 v[2:3], v[0:1], off sc0 sc1
	v_and_b32_e32 v0, 0xffffff, v0
	s_nop 0
	v_readfirstlane_b32 m0, v0
	s_sendmsg sendmsg(MSG_INTERRUPT)
.LBB1_102:                              ;   in Loop: Header=BB1_30 Depth=1
	s_or_b64 exec, exec, s[10:11]
	v_lshl_add_u64 v[0:1], v[8:9], 0, v[32:33]
	s_branch .LBB1_106
.LBB1_103:                              ;   in Loop: Header=BB1_106 Depth=2
	s_or_b64 exec, exec, s[10:11]
	v_readfirstlane_b32 s10, v2
	s_cmp_eq_u32 s10, 0
	s_cbranch_scc1 .LBB1_105
; %bb.104:                              ;   in Loop: Header=BB1_106 Depth=2
	s_sleep 1
	s_cbranch_execnz .LBB1_106
	s_branch .LBB1_108
.LBB1_105:                              ;   in Loop: Header=BB1_30 Depth=1
	s_branch .LBB1_108
.LBB1_106:                              ;   Parent Loop BB1_30 Depth=1
                                        ; =>  This Inner Loop Header: Depth=2
	v_mov_b32_e32 v2, 1
	s_and_saveexec_b64 s[10:11], s[0:1]
	s_cbranch_execz .LBB1_103
; %bb.107:                              ;   in Loop: Header=BB1_106 Depth=2
	global_load_dword v2, v[36:37], off offset:20 sc0 sc1
	s_waitcnt vmcnt(0)
	buffer_inv sc0 sc1
	v_and_b32_e32 v2, 1, v2
	s_branch .LBB1_103
.LBB1_108:                              ;   in Loop: Header=BB1_30 Depth=1
	global_load_dwordx4 v[0:3], v[0:1], off
	s_and_saveexec_b64 s[10:11], s[0:1]
	s_cbranch_execz .LBB1_29
; %bb.109:                              ;   in Loop: Header=BB1_30 Depth=1
	global_load_dwordx2 v[2:3], v33, s[2:3] offset:40
	global_load_dwordx2 v[8:9], v33, s[2:3] offset:24 sc0 sc1
	global_load_dwordx2 v[16:17], v33, s[2:3]
	s_waitcnt vmcnt(2)
	v_lshl_add_u64 v[12:13], v[2:3], 0, 1
	v_lshl_add_u64 v[18:19], v[12:13], 0, s[6:7]
	v_cmp_eq_u64_e32 vcc, 0, v[18:19]
	s_waitcnt vmcnt(1)
	v_mov_b32_e32 v14, v8
	v_cndmask_b32_e32 v13, v19, v13, vcc
	v_cndmask_b32_e32 v12, v18, v12, vcc
	v_and_b32_e32 v3, v13, v3
	v_and_b32_e32 v2, v12, v2
	v_mul_lo_u32 v3, v3, 24
	v_mul_hi_u32 v15, v2, 24
	v_mul_lo_u32 v2, v2, 24
	v_add_u32_e32 v3, v15, v3
	s_waitcnt vmcnt(0)
	v_lshl_add_u64 v[2:3], v[16:17], 0, v[2:3]
	global_store_dwordx2 v[2:3], v[8:9], off
	v_mov_b32_e32 v15, v9
	buffer_wbl2 sc0 sc1
	s_waitcnt vmcnt(0)
	global_atomic_cmpswap_x2 v[14:15], v33, v[12:15], s[2:3] offset:24 sc0 sc1
	s_waitcnt vmcnt(0)
	v_cmp_ne_u64_e32 vcc, v[14:15], v[8:9]
	s_and_b64 exec, exec, vcc
	s_cbranch_execz .LBB1_29
; %bb.110:                              ;   in Loop: Header=BB1_30 Depth=1
	s_mov_b64 s[0:1], 0
.LBB1_111:                              ;   Parent Loop BB1_30 Depth=1
                                        ; =>  This Inner Loop Header: Depth=2
	s_sleep 1
	global_store_dwordx2 v[2:3], v[14:15], off
	buffer_wbl2 sc0 sc1
	s_waitcnt vmcnt(0)
	global_atomic_cmpswap_x2 v[8:9], v33, v[12:15], s[2:3] offset:24 sc0 sc1
	s_waitcnt vmcnt(0)
	v_cmp_eq_u64_e32 vcc, v[8:9], v[14:15]
	s_or_b64 s[0:1], vcc, s[0:1]
	v_mov_b64_e32 v[14:15], v[8:9]
	s_andn2_b64 exec, exec, s[0:1]
	s_cbranch_execnz .LBB1_111
	s_branch .LBB1_29
.LBB1_112:
                                        ; implicit-def: $vgpr0_vgpr1
	s_cbranch_execnz .LBB1_114
	s_branch .LBB1_140
.LBB1_113:
	s_or_b64 exec, exec, s[4:5]
	s_branch .LBB1_140
.LBB1_114:
	v_readfirstlane_b32 s0, v38
	v_mov_b64_e32 v[8:9], 0
	s_nop 0
	v_cmp_eq_u32_e64 s[0:1], s0, v38
	s_and_saveexec_b64 s[4:5], s[0:1]
	s_cbranch_execz .LBB1_120
; %bb.115:
	s_waitcnt vmcnt(0)
	v_mov_b32_e32 v0, 0
	global_load_dwordx2 v[10:11], v0, s[2:3] offset:24 sc0 sc1
	s_waitcnt vmcnt(0)
	buffer_inv sc0 sc1
	global_load_dwordx2 v[2:3], v0, s[2:3] offset:40
	global_load_dwordx2 v[8:9], v0, s[2:3]
	s_waitcnt vmcnt(1)
	v_and_b32_e32 v1, v2, v10
	v_and_b32_e32 v2, v3, v11
	v_mul_lo_u32 v2, v2, 24
	v_mul_hi_u32 v3, v1, 24
	v_add_u32_e32 v3, v3, v2
	v_mul_lo_u32 v2, v1, 24
	s_waitcnt vmcnt(0)
	v_lshl_add_u64 v[2:3], v[8:9], 0, v[2:3]
	global_load_dwordx2 v[8:9], v[2:3], off sc0 sc1
	s_waitcnt vmcnt(0)
	global_atomic_cmpswap_x2 v[8:9], v0, v[8:11], s[2:3] offset:24 sc0 sc1
	s_waitcnt vmcnt(0)
	buffer_inv sc0 sc1
	v_cmp_ne_u64_e32 vcc, v[8:9], v[10:11]
	s_and_saveexec_b64 s[6:7], vcc
	s_cbranch_execz .LBB1_119
; %bb.116:
	s_mov_b64 s[10:11], 0
.LBB1_117:                              ; =>This Inner Loop Header: Depth=1
	s_sleep 1
	global_load_dwordx2 v[2:3], v0, s[2:3] offset:40
	global_load_dwordx2 v[12:13], v0, s[2:3]
	v_mov_b64_e32 v[10:11], v[8:9]
	s_waitcnt vmcnt(1)
	v_and_b32_e32 v2, v2, v10
	v_and_b32_e32 v1, v3, v11
	s_waitcnt vmcnt(0)
	v_mad_u64_u32 v[2:3], s[12:13], v2, 24, v[12:13]
	v_mov_b32_e32 v8, v3
	v_mad_u64_u32 v[8:9], s[12:13], v1, 24, v[8:9]
	v_mov_b32_e32 v3, v8
	global_load_dwordx2 v[8:9], v[2:3], off sc0 sc1
	s_waitcnt vmcnt(0)
	global_atomic_cmpswap_x2 v[8:9], v0, v[8:11], s[2:3] offset:24 sc0 sc1
	s_waitcnt vmcnt(0)
	buffer_inv sc0 sc1
	v_cmp_eq_u64_e32 vcc, v[8:9], v[10:11]
	s_or_b64 s[10:11], vcc, s[10:11]
	s_andn2_b64 exec, exec, s[10:11]
	s_cbranch_execnz .LBB1_117
; %bb.118:
	s_or_b64 exec, exec, s[10:11]
.LBB1_119:
	s_or_b64 exec, exec, s[6:7]
.LBB1_120:
	s_or_b64 exec, exec, s[4:5]
	v_mov_b32_e32 v33, 0
	global_load_dwordx2 v[10:11], v33, s[2:3] offset:40
	global_load_dwordx4 v[0:3], v33, s[2:3]
	v_readfirstlane_b32 s4, v8
	v_readfirstlane_b32 s5, v9
	s_mov_b64 s[6:7], exec
	s_waitcnt vmcnt(1)
	v_readfirstlane_b32 s10, v10
	v_readfirstlane_b32 s11, v11
	s_and_b64 s[10:11], s[4:5], s[10:11]
	s_mul_i32 s12, s11, 24
	s_mul_hi_u32 s13, s10, 24
	s_add_i32 s13, s13, s12
	s_mul_i32 s12, s10, 24
	s_waitcnt vmcnt(0)
	v_lshl_add_u64 v[10:11], v[0:1], 0, s[12:13]
	s_and_saveexec_b64 s[12:13], s[0:1]
	s_cbranch_execz .LBB1_122
; %bb.121:
	v_mov_b64_e32 v[12:13], s[6:7]
	v_mov_b32_e32 v14, 2
	v_mov_b32_e32 v15, 1
	global_store_dwordx4 v[10:11], v[12:15], off offset:8
.LBB1_122:
	s_or_b64 exec, exec, s[12:13]
	s_lshl_b64 s[6:7], s[10:11], 12
	v_lshl_add_u64 v[12:13], v[2:3], 0, s[6:7]
	s_movk_i32 s6, 0xff1f
	s_mov_b32 s12, 0
	v_and_or_b32 v6, v6, s6, 32
	v_mov_b32_e32 v8, v33
	v_mov_b32_e32 v9, v33
	v_readfirstlane_b32 s6, v12
	v_readfirstlane_b32 s7, v13
	s_mov_b32 s13, s12
	s_mov_b32 s14, s12
	;; [unrolled: 1-line block ×3, first 2 shown]
	s_nop 1
	global_store_dwordx4 v32, v[6:9], s[6:7]
	s_nop 1
	v_mov_b64_e32 v[6:7], s[12:13]
	v_mov_b64_e32 v[8:9], s[14:15]
	global_store_dwordx4 v32, v[6:9], s[6:7] offset:16
	global_store_dwordx4 v32, v[6:9], s[6:7] offset:32
	;; [unrolled: 1-line block ×3, first 2 shown]
	s_and_saveexec_b64 s[6:7], s[0:1]
	s_cbranch_execz .LBB1_130
; %bb.123:
	v_mov_b32_e32 v8, 0
	global_load_dwordx2 v[16:17], v8, s[2:3] offset:32 sc0 sc1
	global_load_dwordx2 v[2:3], v8, s[2:3] offset:40
	v_mov_b32_e32 v14, s4
	v_mov_b32_e32 v15, s5
	s_waitcnt vmcnt(0)
	v_readfirstlane_b32 s10, v2
	v_readfirstlane_b32 s11, v3
	s_and_b64 s[10:11], s[10:11], s[4:5]
	s_mul_i32 s11, s11, 24
	s_mul_hi_u32 s12, s10, 24
	s_mul_i32 s10, s10, 24
	s_add_i32 s11, s12, s11
	v_lshl_add_u64 v[6:7], v[0:1], 0, s[10:11]
	global_store_dwordx2 v[6:7], v[16:17], off
	buffer_wbl2 sc0 sc1
	s_waitcnt vmcnt(0)
	global_atomic_cmpswap_x2 v[2:3], v8, v[14:17], s[2:3] offset:32 sc0 sc1
	s_waitcnt vmcnt(0)
	v_cmp_ne_u64_e32 vcc, v[2:3], v[16:17]
	s_and_saveexec_b64 s[10:11], vcc
	s_cbranch_execz .LBB1_126
; %bb.124:
	s_mov_b64 s[12:13], 0
.LBB1_125:                              ; =>This Inner Loop Header: Depth=1
	s_sleep 1
	global_store_dwordx2 v[6:7], v[2:3], off
	v_mov_b32_e32 v0, s4
	v_mov_b32_e32 v1, s5
	buffer_wbl2 sc0 sc1
	s_waitcnt vmcnt(0)
	global_atomic_cmpswap_x2 v[0:1], v8, v[0:3], s[2:3] offset:32 sc0 sc1
	s_waitcnt vmcnt(0)
	v_cmp_eq_u64_e32 vcc, v[0:1], v[2:3]
	s_or_b64 s[12:13], vcc, s[12:13]
	v_mov_b64_e32 v[2:3], v[0:1]
	s_andn2_b64 exec, exec, s[12:13]
	s_cbranch_execnz .LBB1_125
.LBB1_126:
	s_or_b64 exec, exec, s[10:11]
	v_mov_b32_e32 v3, 0
	global_load_dwordx2 v[0:1], v3, s[2:3] offset:16
	s_mov_b64 s[10:11], exec
	v_mbcnt_lo_u32_b32 v2, s10, 0
	v_mbcnt_hi_u32_b32 v2, s11, v2
	v_cmp_eq_u32_e32 vcc, 0, v2
	s_and_saveexec_b64 s[12:13], vcc
	s_cbranch_execz .LBB1_128
; %bb.127:
	s_bcnt1_i32_b64 s10, s[10:11]
	v_mov_b32_e32 v2, s10
	buffer_wbl2 sc0 sc1
	s_waitcnt vmcnt(0)
	global_atomic_add_x2 v[0:1], v[2:3], off offset:8 sc1
.LBB1_128:
	s_or_b64 exec, exec, s[12:13]
	s_waitcnt vmcnt(0)
	global_load_dwordx2 v[2:3], v[0:1], off offset:16
	s_waitcnt vmcnt(0)
	v_cmp_eq_u64_e32 vcc, 0, v[2:3]
	s_cbranch_vccnz .LBB1_130
; %bb.129:
	global_load_dword v0, v[0:1], off offset:24
	v_mov_b32_e32 v1, 0
	buffer_wbl2 sc0 sc1
	s_waitcnt vmcnt(0)
	global_store_dwordx2 v[2:3], v[0:1], off sc0 sc1
	v_and_b32_e32 v0, 0xffffff, v0
	s_nop 0
	v_readfirstlane_b32 m0, v0
	s_sendmsg sendmsg(MSG_INTERRUPT)
.LBB1_130:
	s_or_b64 exec, exec, s[6:7]
	v_lshl_add_u64 v[0:1], v[12:13], 0, v[32:33]
	s_branch .LBB1_134
.LBB1_131:                              ;   in Loop: Header=BB1_134 Depth=1
	s_or_b64 exec, exec, s[6:7]
	v_readfirstlane_b32 s6, v2
	s_cmp_eq_u32 s6, 0
	s_cbranch_scc1 .LBB1_133
; %bb.132:                              ;   in Loop: Header=BB1_134 Depth=1
	s_sleep 1
	s_cbranch_execnz .LBB1_134
	s_branch .LBB1_136
.LBB1_133:
	s_branch .LBB1_136
.LBB1_134:                              ; =>This Inner Loop Header: Depth=1
	v_mov_b32_e32 v2, 1
	s_and_saveexec_b64 s[6:7], s[0:1]
	s_cbranch_execz .LBB1_131
; %bb.135:                              ;   in Loop: Header=BB1_134 Depth=1
	global_load_dword v2, v[10:11], off offset:20 sc0 sc1
	s_waitcnt vmcnt(0)
	buffer_inv sc0 sc1
	v_and_b32_e32 v2, 1, v2
	s_branch .LBB1_131
.LBB1_136:
	global_load_dwordx2 v[0:1], v[0:1], off
	s_and_saveexec_b64 s[6:7], s[0:1]
	s_cbranch_execz .LBB1_139
; %bb.137:
	v_mov_b32_e32 v10, 0
	global_load_dwordx2 v[2:3], v10, s[2:3] offset:40
	global_load_dwordx2 v[12:13], v10, s[2:3] offset:24 sc0 sc1
	global_load_dwordx2 v[14:15], v10, s[2:3]
	s_mov_b64 s[0:1], 0
	s_waitcnt vmcnt(2)
	v_lshl_add_u64 v[6:7], v[2:3], 0, 1
	v_lshl_add_u64 v[16:17], v[6:7], 0, s[4:5]
	v_cmp_eq_u64_e32 vcc, 0, v[16:17]
	s_waitcnt vmcnt(1)
	v_mov_b32_e32 v8, v12
	v_cndmask_b32_e32 v7, v17, v7, vcc
	v_cndmask_b32_e32 v6, v16, v6, vcc
	v_and_b32_e32 v3, v7, v3
	v_and_b32_e32 v2, v6, v2
	v_mul_lo_u32 v3, v3, 24
	v_mul_hi_u32 v9, v2, 24
	v_mul_lo_u32 v2, v2, 24
	v_add_u32_e32 v3, v9, v3
	s_waitcnt vmcnt(0)
	v_lshl_add_u64 v[2:3], v[14:15], 0, v[2:3]
	global_store_dwordx2 v[2:3], v[12:13], off
	v_mov_b32_e32 v9, v13
	buffer_wbl2 sc0 sc1
	s_waitcnt vmcnt(0)
	global_atomic_cmpswap_x2 v[8:9], v10, v[6:9], s[2:3] offset:24 sc0 sc1
	s_waitcnt vmcnt(0)
	v_cmp_ne_u64_e32 vcc, v[8:9], v[12:13]
	s_and_b64 exec, exec, vcc
	s_cbranch_execz .LBB1_139
.LBB1_138:                              ; =>This Inner Loop Header: Depth=1
	s_sleep 1
	global_store_dwordx2 v[2:3], v[8:9], off
	buffer_wbl2 sc0 sc1
	s_waitcnt vmcnt(0)
	global_atomic_cmpswap_x2 v[12:13], v10, v[6:9], s[2:3] offset:24 sc0 sc1
	s_waitcnt vmcnt(0)
	v_cmp_eq_u64_e32 vcc, v[12:13], v[8:9]
	s_or_b64 s[0:1], vcc, s[0:1]
	v_mov_b64_e32 v[8:9], v[12:13]
	s_andn2_b64 exec, exec, s[0:1]
	s_cbranch_execnz .LBB1_138
.LBB1_139:
	s_or_b64 exec, exec, s[6:7]
.LBB1_140:
	s_getpc_b64 s[4:5]
	s_add_u32 s4, s4, .str.2@rel32@lo+4
	s_addc_u32 s5, s5, .str.2@rel32@hi+12
	s_cmp_lg_u64 s[4:5], 0
	s_cbranch_scc0 .LBB1_224
; %bb.141:
	s_getpc_b64 s[0:1]
	s_add_u32 s0, s0, .str.2@rel32@lo+80
	s_addc_u32 s1, s1, .str.2@rel32@hi+88
	s_sub_i32 s6, s0, s4
	s_ashr_i32 s7, s6, 31
	s_waitcnt vmcnt(0)
	v_and_b32_e32 v2, 2, v0
	v_mov_b32_e32 v35, 0
	v_and_b32_e32 v6, -3, v0
	v_mov_b32_e32 v7, v1
	v_mov_b32_e32 v10, 2
	v_mov_b32_e32 v11, 1
	s_branch .LBB1_143
.LBB1_142:                              ;   in Loop: Header=BB1_143 Depth=1
	s_or_b64 exec, exec, s[14:15]
	s_sub_u32 s6, s6, s10
	s_subb_u32 s7, s7, s11
	s_add_u32 s4, s4, s10
	s_addc_u32 s5, s5, s11
	s_cmp_lg_u64 s[6:7], 0
	s_cbranch_scc0 .LBB1_225
.LBB1_143:                              ; =>This Loop Header: Depth=1
                                        ;     Child Loop BB1_146 Depth 2
                                        ;     Child Loop BB1_153 Depth 2
	;; [unrolled: 1-line block ×11, first 2 shown]
	v_cmp_lt_u64_e64 s[0:1], s[6:7], 56
	s_and_b64 s[0:1], s[0:1], exec
	v_cmp_gt_u64_e64 s[0:1], s[6:7], 7
	s_cselect_b32 s11, s7, 0
	s_cselect_b32 s10, s6, 56
	s_and_b64 vcc, exec, s[0:1]
	s_cbranch_vccnz .LBB1_148
; %bb.144:                              ;   in Loop: Header=BB1_143 Depth=1
	s_mov_b64 s[0:1], 0
	s_cmp_eq_u64 s[6:7], 0
	v_mov_b64_e32 v[14:15], 0
	s_cbranch_scc1 .LBB1_147
; %bb.145:                              ;   in Loop: Header=BB1_143 Depth=1
	s_lshl_b64 s[12:13], s[10:11], 3
	s_mov_b64 s[14:15], 0
	v_mov_b64_e32 v[14:15], 0
	s_mov_b64 s[16:17], s[4:5]
.LBB1_146:                              ;   Parent Loop BB1_143 Depth=1
                                        ; =>  This Inner Loop Header: Depth=2
	global_load_ubyte v3, v35, s[16:17]
	s_waitcnt vmcnt(0)
	v_and_b32_e32 v34, 0xffff, v3
	v_lshlrev_b64 v[8:9], s14, v[34:35]
	s_add_u32 s14, s14, 8
	s_addc_u32 s15, s15, 0
	s_add_u32 s16, s16, 1
	s_addc_u32 s17, s17, 0
	v_or_b32_e32 v14, v8, v14
	s_cmp_lg_u32 s12, s14
	v_or_b32_e32 v15, v9, v15
	s_cbranch_scc1 .LBB1_146
.LBB1_147:                              ;   in Loop: Header=BB1_143 Depth=1
	s_mov_b32 s16, 0
	s_andn2_b64 vcc, exec, s[0:1]
	s_mov_b64 s[0:1], s[4:5]
	s_cbranch_vccz .LBB1_149
	s_branch .LBB1_150
.LBB1_148:                              ;   in Loop: Header=BB1_143 Depth=1
                                        ; implicit-def: $vgpr14_vgpr15
                                        ; implicit-def: $sgpr16
	s_mov_b64 s[0:1], s[4:5]
.LBB1_149:                              ;   in Loop: Header=BB1_143 Depth=1
	global_load_dwordx2 v[14:15], v35, s[4:5]
	s_add_i32 s16, s10, -8
	s_add_u32 s0, s4, 8
	s_addc_u32 s1, s5, 0
.LBB1_150:                              ;   in Loop: Header=BB1_143 Depth=1
	s_cmp_gt_u32 s16, 7
	s_cbranch_scc1 .LBB1_154
; %bb.151:                              ;   in Loop: Header=BB1_143 Depth=1
	s_cmp_eq_u32 s16, 0
	s_cbranch_scc1 .LBB1_155
; %bb.152:                              ;   in Loop: Header=BB1_143 Depth=1
	s_mov_b64 s[12:13], 0
	v_mov_b64_e32 v[16:17], 0
	s_mov_b64 s[14:15], 0
.LBB1_153:                              ;   Parent Loop BB1_143 Depth=1
                                        ; =>  This Inner Loop Header: Depth=2
	s_add_u32 s18, s0, s14
	s_addc_u32 s19, s1, s15
	global_load_ubyte v3, v35, s[18:19]
	s_add_u32 s14, s14, 1
	s_addc_u32 s15, s15, 0
	s_waitcnt vmcnt(0)
	v_and_b32_e32 v34, 0xffff, v3
	v_lshlrev_b64 v[8:9], s12, v[34:35]
	s_add_u32 s12, s12, 8
	s_addc_u32 s13, s13, 0
	v_or_b32_e32 v16, v8, v16
	s_cmp_lg_u32 s16, s14
	v_or_b32_e32 v17, v9, v17
	s_cbranch_scc1 .LBB1_153
	s_branch .LBB1_156
.LBB1_154:                              ;   in Loop: Header=BB1_143 Depth=1
                                        ; implicit-def: $vgpr16_vgpr17
                                        ; implicit-def: $sgpr17
	s_branch .LBB1_157
.LBB1_155:                              ;   in Loop: Header=BB1_143 Depth=1
	v_mov_b64_e32 v[16:17], 0
.LBB1_156:                              ;   in Loop: Header=BB1_143 Depth=1
	s_mov_b32 s17, 0
	s_cbranch_execnz .LBB1_158
.LBB1_157:                              ;   in Loop: Header=BB1_143 Depth=1
	global_load_dwordx2 v[16:17], v35, s[0:1]
	s_add_i32 s17, s16, -8
	s_add_u32 s0, s0, 8
	s_addc_u32 s1, s1, 0
.LBB1_158:                              ;   in Loop: Header=BB1_143 Depth=1
	s_cmp_gt_u32 s17, 7
	s_cbranch_scc1 .LBB1_162
; %bb.159:                              ;   in Loop: Header=BB1_143 Depth=1
	s_cmp_eq_u32 s17, 0
	s_cbranch_scc1 .LBB1_163
; %bb.160:                              ;   in Loop: Header=BB1_143 Depth=1
	s_mov_b64 s[12:13], 0
	v_mov_b64_e32 v[18:19], 0
	s_mov_b64 s[14:15], 0
.LBB1_161:                              ;   Parent Loop BB1_143 Depth=1
                                        ; =>  This Inner Loop Header: Depth=2
	s_add_u32 s18, s0, s14
	s_addc_u32 s19, s1, s15
	global_load_ubyte v3, v35, s[18:19]
	s_add_u32 s14, s14, 1
	s_addc_u32 s15, s15, 0
	s_waitcnt vmcnt(0)
	v_and_b32_e32 v34, 0xffff, v3
	v_lshlrev_b64 v[8:9], s12, v[34:35]
	s_add_u32 s12, s12, 8
	s_addc_u32 s13, s13, 0
	v_or_b32_e32 v18, v8, v18
	s_cmp_lg_u32 s17, s14
	v_or_b32_e32 v19, v9, v19
	s_cbranch_scc1 .LBB1_161
	s_branch .LBB1_164
.LBB1_162:                              ;   in Loop: Header=BB1_143 Depth=1
                                        ; implicit-def: $sgpr16
	s_branch .LBB1_165
.LBB1_163:                              ;   in Loop: Header=BB1_143 Depth=1
	v_mov_b64_e32 v[18:19], 0
.LBB1_164:                              ;   in Loop: Header=BB1_143 Depth=1
	s_mov_b32 s16, 0
	s_cbranch_execnz .LBB1_166
.LBB1_165:                              ;   in Loop: Header=BB1_143 Depth=1
	global_load_dwordx2 v[18:19], v35, s[0:1]
	s_add_i32 s16, s17, -8
	s_add_u32 s0, s0, 8
	s_addc_u32 s1, s1, 0
.LBB1_166:                              ;   in Loop: Header=BB1_143 Depth=1
	s_cmp_gt_u32 s16, 7
	s_cbranch_scc1 .LBB1_170
; %bb.167:                              ;   in Loop: Header=BB1_143 Depth=1
	s_cmp_eq_u32 s16, 0
	s_cbranch_scc1 .LBB1_171
; %bb.168:                              ;   in Loop: Header=BB1_143 Depth=1
	s_mov_b64 s[12:13], 0
	v_mov_b64_e32 v[20:21], 0
	s_mov_b64 s[14:15], 0
.LBB1_169:                              ;   Parent Loop BB1_143 Depth=1
                                        ; =>  This Inner Loop Header: Depth=2
	s_add_u32 s18, s0, s14
	s_addc_u32 s19, s1, s15
	global_load_ubyte v3, v35, s[18:19]
	s_add_u32 s14, s14, 1
	s_addc_u32 s15, s15, 0
	s_waitcnt vmcnt(0)
	v_and_b32_e32 v34, 0xffff, v3
	v_lshlrev_b64 v[8:9], s12, v[34:35]
	s_add_u32 s12, s12, 8
	s_addc_u32 s13, s13, 0
	v_or_b32_e32 v20, v8, v20
	s_cmp_lg_u32 s16, s14
	v_or_b32_e32 v21, v9, v21
	s_cbranch_scc1 .LBB1_169
	s_branch .LBB1_172
.LBB1_170:                              ;   in Loop: Header=BB1_143 Depth=1
                                        ; implicit-def: $vgpr20_vgpr21
                                        ; implicit-def: $sgpr17
	s_branch .LBB1_173
.LBB1_171:                              ;   in Loop: Header=BB1_143 Depth=1
	v_mov_b64_e32 v[20:21], 0
.LBB1_172:                              ;   in Loop: Header=BB1_143 Depth=1
	s_mov_b32 s17, 0
	s_cbranch_execnz .LBB1_174
.LBB1_173:                              ;   in Loop: Header=BB1_143 Depth=1
	global_load_dwordx2 v[20:21], v35, s[0:1]
	s_add_i32 s17, s16, -8
	s_add_u32 s0, s0, 8
	s_addc_u32 s1, s1, 0
.LBB1_174:                              ;   in Loop: Header=BB1_143 Depth=1
	s_cmp_gt_u32 s17, 7
	s_cbranch_scc1 .LBB1_178
; %bb.175:                              ;   in Loop: Header=BB1_143 Depth=1
	s_cmp_eq_u32 s17, 0
	s_cbranch_scc1 .LBB1_179
; %bb.176:                              ;   in Loop: Header=BB1_143 Depth=1
	s_mov_b64 s[12:13], 0
	v_mov_b64_e32 v[22:23], 0
	s_mov_b64 s[14:15], 0
.LBB1_177:                              ;   Parent Loop BB1_143 Depth=1
                                        ; =>  This Inner Loop Header: Depth=2
	s_add_u32 s18, s0, s14
	s_addc_u32 s19, s1, s15
	global_load_ubyte v3, v35, s[18:19]
	s_add_u32 s14, s14, 1
	s_addc_u32 s15, s15, 0
	s_waitcnt vmcnt(0)
	v_and_b32_e32 v34, 0xffff, v3
	v_lshlrev_b64 v[8:9], s12, v[34:35]
	s_add_u32 s12, s12, 8
	s_addc_u32 s13, s13, 0
	v_or_b32_e32 v22, v8, v22
	s_cmp_lg_u32 s17, s14
	v_or_b32_e32 v23, v9, v23
	s_cbranch_scc1 .LBB1_177
	s_branch .LBB1_180
.LBB1_178:                              ;   in Loop: Header=BB1_143 Depth=1
                                        ; implicit-def: $sgpr16
	s_branch .LBB1_181
.LBB1_179:                              ;   in Loop: Header=BB1_143 Depth=1
	v_mov_b64_e32 v[22:23], 0
.LBB1_180:                              ;   in Loop: Header=BB1_143 Depth=1
	s_mov_b32 s16, 0
	s_cbranch_execnz .LBB1_182
.LBB1_181:                              ;   in Loop: Header=BB1_143 Depth=1
	global_load_dwordx2 v[22:23], v35, s[0:1]
	s_add_i32 s16, s17, -8
	s_add_u32 s0, s0, 8
	s_addc_u32 s1, s1, 0
.LBB1_182:                              ;   in Loop: Header=BB1_143 Depth=1
	s_cmp_gt_u32 s16, 7
	s_cbranch_scc1 .LBB1_186
; %bb.183:                              ;   in Loop: Header=BB1_143 Depth=1
	s_cmp_eq_u32 s16, 0
	s_cbranch_scc1 .LBB1_187
; %bb.184:                              ;   in Loop: Header=BB1_143 Depth=1
	s_mov_b64 s[12:13], 0
	v_mov_b64_e32 v[24:25], 0
	s_mov_b64 s[14:15], 0
.LBB1_185:                              ;   Parent Loop BB1_143 Depth=1
                                        ; =>  This Inner Loop Header: Depth=2
	s_add_u32 s18, s0, s14
	s_addc_u32 s19, s1, s15
	global_load_ubyte v3, v35, s[18:19]
	s_add_u32 s14, s14, 1
	s_addc_u32 s15, s15, 0
	s_waitcnt vmcnt(0)
	v_and_b32_e32 v34, 0xffff, v3
	v_lshlrev_b64 v[8:9], s12, v[34:35]
	s_add_u32 s12, s12, 8
	s_addc_u32 s13, s13, 0
	v_or_b32_e32 v24, v8, v24
	s_cmp_lg_u32 s16, s14
	v_or_b32_e32 v25, v9, v25
	s_cbranch_scc1 .LBB1_185
	s_branch .LBB1_188
.LBB1_186:                              ;   in Loop: Header=BB1_143 Depth=1
                                        ; implicit-def: $vgpr24_vgpr25
                                        ; implicit-def: $sgpr17
	s_branch .LBB1_189
.LBB1_187:                              ;   in Loop: Header=BB1_143 Depth=1
	v_mov_b64_e32 v[24:25], 0
.LBB1_188:                              ;   in Loop: Header=BB1_143 Depth=1
	s_mov_b32 s17, 0
	s_cbranch_execnz .LBB1_190
.LBB1_189:                              ;   in Loop: Header=BB1_143 Depth=1
	global_load_dwordx2 v[24:25], v35, s[0:1]
	s_add_i32 s17, s16, -8
	s_add_u32 s0, s0, 8
	s_addc_u32 s1, s1, 0
.LBB1_190:                              ;   in Loop: Header=BB1_143 Depth=1
	s_cmp_gt_u32 s17, 7
	s_cbranch_scc1 .LBB1_194
; %bb.191:                              ;   in Loop: Header=BB1_143 Depth=1
	s_cmp_eq_u32 s17, 0
	s_cbranch_scc1 .LBB1_195
; %bb.192:                              ;   in Loop: Header=BB1_143 Depth=1
	s_mov_b64 s[12:13], 0
	v_mov_b64_e32 v[26:27], 0
	s_mov_b64 s[14:15], s[0:1]
.LBB1_193:                              ;   Parent Loop BB1_143 Depth=1
                                        ; =>  This Inner Loop Header: Depth=2
	global_load_ubyte v3, v35, s[14:15]
	s_add_i32 s17, s17, -1
	s_waitcnt vmcnt(0)
	v_and_b32_e32 v34, 0xffff, v3
	v_lshlrev_b64 v[8:9], s12, v[34:35]
	s_add_u32 s12, s12, 8
	s_addc_u32 s13, s13, 0
	s_add_u32 s14, s14, 1
	s_addc_u32 s15, s15, 0
	v_or_b32_e32 v26, v8, v26
	s_cmp_lg_u32 s17, 0
	v_or_b32_e32 v27, v9, v27
	s_cbranch_scc1 .LBB1_193
	s_branch .LBB1_196
.LBB1_194:                              ;   in Loop: Header=BB1_143 Depth=1
	s_branch .LBB1_197
.LBB1_195:                              ;   in Loop: Header=BB1_143 Depth=1
	v_mov_b64_e32 v[26:27], 0
.LBB1_196:                              ;   in Loop: Header=BB1_143 Depth=1
	s_cbranch_execnz .LBB1_198
.LBB1_197:                              ;   in Loop: Header=BB1_143 Depth=1
	global_load_dwordx2 v[26:27], v35, s[0:1]
.LBB1_198:                              ;   in Loop: Header=BB1_143 Depth=1
	v_readfirstlane_b32 s0, v38
	s_waitcnt vmcnt(0)
	v_mov_b64_e32 v[8:9], 0
	v_cmp_eq_u32_e64 s[0:1], s0, v38
	s_and_saveexec_b64 s[12:13], s[0:1]
	s_cbranch_execz .LBB1_204
; %bb.199:                              ;   in Loop: Header=BB1_143 Depth=1
	global_load_dwordx2 v[30:31], v35, s[2:3] offset:24 sc0 sc1
	s_waitcnt vmcnt(0)
	buffer_inv sc0 sc1
	global_load_dwordx2 v[8:9], v35, s[2:3] offset:40
	global_load_dwordx2 v[12:13], v35, s[2:3]
	s_waitcnt vmcnt(1)
	v_and_b32_e32 v3, v8, v30
	v_and_b32_e32 v8, v9, v31
	v_mul_lo_u32 v8, v8, 24
	v_mul_hi_u32 v9, v3, 24
	v_add_u32_e32 v9, v9, v8
	v_mul_lo_u32 v8, v3, 24
	s_waitcnt vmcnt(0)
	v_lshl_add_u64 v[8:9], v[12:13], 0, v[8:9]
	global_load_dwordx2 v[28:29], v[8:9], off sc0 sc1
	s_waitcnt vmcnt(0)
	global_atomic_cmpswap_x2 v[8:9], v35, v[28:31], s[2:3] offset:24 sc0 sc1
	s_waitcnt vmcnt(0)
	buffer_inv sc0 sc1
	v_cmp_ne_u64_e32 vcc, v[8:9], v[30:31]
	s_and_saveexec_b64 s[14:15], vcc
	s_cbranch_execz .LBB1_203
; %bb.200:                              ;   in Loop: Header=BB1_143 Depth=1
	s_mov_b64 s[16:17], 0
.LBB1_201:                              ;   Parent Loop BB1_143 Depth=1
                                        ; =>  This Inner Loop Header: Depth=2
	s_sleep 1
	global_load_dwordx2 v[12:13], v35, s[2:3] offset:40
	global_load_dwordx2 v[28:29], v35, s[2:3]
	v_mov_b64_e32 v[30:31], v[8:9]
	s_waitcnt vmcnt(1)
	v_and_b32_e32 v8, v12, v30
	s_waitcnt vmcnt(0)
	v_mad_u64_u32 v[8:9], s[18:19], v8, 24, v[28:29]
	v_and_b32_e32 v3, v13, v31
	v_mov_b32_e32 v12, v9
	v_mad_u64_u32 v[12:13], s[18:19], v3, 24, v[12:13]
	v_mov_b32_e32 v9, v12
	global_load_dwordx2 v[28:29], v[8:9], off sc0 sc1
	s_waitcnt vmcnt(0)
	global_atomic_cmpswap_x2 v[8:9], v35, v[28:31], s[2:3] offset:24 sc0 sc1
	s_waitcnt vmcnt(0)
	buffer_inv sc0 sc1
	v_cmp_eq_u64_e32 vcc, v[8:9], v[30:31]
	s_or_b64 s[16:17], vcc, s[16:17]
	s_andn2_b64 exec, exec, s[16:17]
	s_cbranch_execnz .LBB1_201
; %bb.202:                              ;   in Loop: Header=BB1_143 Depth=1
	s_or_b64 exec, exec, s[16:17]
.LBB1_203:                              ;   in Loop: Header=BB1_143 Depth=1
	s_or_b64 exec, exec, s[14:15]
.LBB1_204:                              ;   in Loop: Header=BB1_143 Depth=1
	s_or_b64 exec, exec, s[12:13]
	global_load_dwordx2 v[12:13], v35, s[2:3] offset:40
	global_load_dwordx4 v[28:31], v35, s[2:3]
	v_readfirstlane_b32 s12, v8
	v_readfirstlane_b32 s13, v9
	s_mov_b64 s[14:15], exec
	s_waitcnt vmcnt(1)
	v_readfirstlane_b32 s16, v12
	v_readfirstlane_b32 s17, v13
	s_and_b64 s[16:17], s[12:13], s[16:17]
	s_mul_i32 s18, s17, 24
	s_mul_hi_u32 s19, s16, 24
	s_add_i32 s19, s19, s18
	s_mul_i32 s18, s16, 24
	s_waitcnt vmcnt(0)
	v_lshl_add_u64 v[36:37], v[28:29], 0, s[18:19]
	s_and_saveexec_b64 s[18:19], s[0:1]
	s_cbranch_execz .LBB1_206
; %bb.205:                              ;   in Loop: Header=BB1_143 Depth=1
	v_mov_b64_e32 v[8:9], s[14:15]
	global_store_dwordx4 v[36:37], v[8:11], off offset:8
.LBB1_206:                              ;   in Loop: Header=BB1_143 Depth=1
	s_or_b64 exec, exec, s[18:19]
	s_lshl_b64 s[14:15], s[16:17], 12
	v_lshl_add_u64 v[30:31], v[30:31], 0, s[14:15]
	v_or_b32_e32 v3, 0, v7
	v_or_b32_e32 v8, v6, v2
	v_cmp_gt_u64_e64 vcc, s[6:7], 56
	s_lshl_b32 s14, s10, 2
	s_add_i32 s14, s14, 28
	v_cndmask_b32_e32 v13, v3, v7, vcc
	v_cndmask_b32_e32 v3, v8, v6, vcc
	s_and_b32 s14, s14, 0x1e0
	v_and_b32_e32 v3, 0xffffff1f, v3
	v_or_b32_e32 v12, s14, v3
	v_readfirstlane_b32 s14, v30
	v_readfirstlane_b32 s15, v31
	s_nop 4
	global_store_dwordx4 v32, v[12:15], s[14:15]
	global_store_dwordx4 v32, v[16:19], s[14:15] offset:16
	global_store_dwordx4 v32, v[20:23], s[14:15] offset:32
	;; [unrolled: 1-line block ×3, first 2 shown]
	s_and_saveexec_b64 s[14:15], s[0:1]
	s_cbranch_execz .LBB1_214
; %bb.207:                              ;   in Loop: Header=BB1_143 Depth=1
	global_load_dwordx2 v[16:17], v35, s[2:3] offset:32 sc0 sc1
	global_load_dwordx2 v[6:7], v35, s[2:3] offset:40
	v_mov_b32_e32 v14, s12
	v_mov_b32_e32 v15, s13
	s_waitcnt vmcnt(0)
	v_readfirstlane_b32 s16, v6
	v_readfirstlane_b32 s17, v7
	s_and_b64 s[16:17], s[16:17], s[12:13]
	s_mul_i32 s17, s17, 24
	s_mul_hi_u32 s18, s16, 24
	s_mul_i32 s16, s16, 24
	s_add_i32 s17, s18, s17
	v_lshl_add_u64 v[12:13], v[28:29], 0, s[16:17]
	global_store_dwordx2 v[12:13], v[16:17], off
	buffer_wbl2 sc0 sc1
	s_waitcnt vmcnt(0)
	global_atomic_cmpswap_x2 v[8:9], v35, v[14:17], s[2:3] offset:32 sc0 sc1
	s_waitcnt vmcnt(0)
	v_cmp_ne_u64_e32 vcc, v[8:9], v[16:17]
	s_and_saveexec_b64 s[16:17], vcc
	s_cbranch_execz .LBB1_210
; %bb.208:                              ;   in Loop: Header=BB1_143 Depth=1
	s_mov_b64 s[18:19], 0
.LBB1_209:                              ;   Parent Loop BB1_143 Depth=1
                                        ; =>  This Inner Loop Header: Depth=2
	s_sleep 1
	global_store_dwordx2 v[12:13], v[8:9], off
	v_mov_b32_e32 v6, s12
	v_mov_b32_e32 v7, s13
	buffer_wbl2 sc0 sc1
	s_waitcnt vmcnt(0)
	global_atomic_cmpswap_x2 v[6:7], v35, v[6:9], s[2:3] offset:32 sc0 sc1
	s_waitcnt vmcnt(0)
	v_cmp_eq_u64_e32 vcc, v[6:7], v[8:9]
	s_or_b64 s[18:19], vcc, s[18:19]
	v_mov_b64_e32 v[8:9], v[6:7]
	s_andn2_b64 exec, exec, s[18:19]
	s_cbranch_execnz .LBB1_209
.LBB1_210:                              ;   in Loop: Header=BB1_143 Depth=1
	s_or_b64 exec, exec, s[16:17]
	global_load_dwordx2 v[6:7], v35, s[2:3] offset:16
	s_mov_b64 s[18:19], exec
	v_mbcnt_lo_u32_b32 v3, s18, 0
	v_mbcnt_hi_u32_b32 v3, s19, v3
	v_cmp_eq_u32_e32 vcc, 0, v3
	s_and_saveexec_b64 s[16:17], vcc
	s_cbranch_execz .LBB1_212
; %bb.211:                              ;   in Loop: Header=BB1_143 Depth=1
	s_bcnt1_i32_b64 s18, s[18:19]
	v_mov_b32_e32 v34, s18
	buffer_wbl2 sc0 sc1
	s_waitcnt vmcnt(0)
	global_atomic_add_x2 v[6:7], v[34:35], off offset:8 sc1
.LBB1_212:                              ;   in Loop: Header=BB1_143 Depth=1
	s_or_b64 exec, exec, s[16:17]
	s_waitcnt vmcnt(0)
	global_load_dwordx2 v[8:9], v[6:7], off offset:16
	s_waitcnt vmcnt(0)
	v_cmp_eq_u64_e32 vcc, 0, v[8:9]
	s_cbranch_vccnz .LBB1_214
; %bb.213:                              ;   in Loop: Header=BB1_143 Depth=1
	global_load_dword v34, v[6:7], off offset:24
	s_waitcnt vmcnt(0)
	v_and_b32_e32 v3, 0xffffff, v34
	s_nop 0
	v_readfirstlane_b32 m0, v3
	buffer_wbl2 sc0 sc1
	global_store_dwordx2 v[8:9], v[34:35], off sc0 sc1
	s_sendmsg sendmsg(MSG_INTERRUPT)
.LBB1_214:                              ;   in Loop: Header=BB1_143 Depth=1
	s_or_b64 exec, exec, s[14:15]
	v_mov_b32_e32 v33, v35
	v_lshl_add_u64 v[6:7], v[30:31], 0, v[32:33]
	s_branch .LBB1_218
.LBB1_215:                              ;   in Loop: Header=BB1_218 Depth=2
	s_or_b64 exec, exec, s[14:15]
	v_readfirstlane_b32 s14, v3
	s_cmp_eq_u32 s14, 0
	s_cbranch_scc1 .LBB1_217
; %bb.216:                              ;   in Loop: Header=BB1_218 Depth=2
	s_sleep 1
	s_cbranch_execnz .LBB1_218
	s_branch .LBB1_220
.LBB1_217:                              ;   in Loop: Header=BB1_143 Depth=1
	s_branch .LBB1_220
.LBB1_218:                              ;   Parent Loop BB1_143 Depth=1
                                        ; =>  This Inner Loop Header: Depth=2
	v_mov_b32_e32 v3, 1
	s_and_saveexec_b64 s[14:15], s[0:1]
	s_cbranch_execz .LBB1_215
; %bb.219:                              ;   in Loop: Header=BB1_218 Depth=2
	global_load_dword v3, v[36:37], off offset:20 sc0 sc1
	s_waitcnt vmcnt(0)
	buffer_inv sc0 sc1
	v_and_b32_e32 v3, 1, v3
	s_branch .LBB1_215
.LBB1_220:                              ;   in Loop: Header=BB1_143 Depth=1
	global_load_dwordx4 v[6:9], v[6:7], off
	s_and_saveexec_b64 s[14:15], s[0:1]
	s_cbranch_execz .LBB1_142
; %bb.221:                              ;   in Loop: Header=BB1_143 Depth=1
	global_load_dwordx2 v[8:9], v35, s[2:3] offset:40
	global_load_dwordx2 v[16:17], v35, s[2:3] offset:24 sc0 sc1
	global_load_dwordx2 v[18:19], v35, s[2:3]
	s_waitcnt vmcnt(2)
	v_lshl_add_u64 v[12:13], v[8:9], 0, 1
	v_lshl_add_u64 v[20:21], v[12:13], 0, s[12:13]
	v_cmp_eq_u64_e32 vcc, 0, v[20:21]
	s_waitcnt vmcnt(1)
	v_mov_b32_e32 v14, v16
	v_mov_b32_e32 v15, v17
	v_cndmask_b32_e32 v13, v21, v13, vcc
	v_cndmask_b32_e32 v12, v20, v12, vcc
	v_and_b32_e32 v3, v13, v9
	v_and_b32_e32 v8, v12, v8
	v_mul_lo_u32 v3, v3, 24
	v_mul_hi_u32 v9, v8, 24
	v_mul_lo_u32 v8, v8, 24
	v_add_u32_e32 v9, v9, v3
	s_waitcnt vmcnt(0)
	v_lshl_add_u64 v[8:9], v[18:19], 0, v[8:9]
	global_store_dwordx2 v[8:9], v[16:17], off
	buffer_wbl2 sc0 sc1
	s_waitcnt vmcnt(0)
	global_atomic_cmpswap_x2 v[14:15], v35, v[12:15], s[2:3] offset:24 sc0 sc1
	s_waitcnt vmcnt(0)
	v_cmp_ne_u64_e32 vcc, v[14:15], v[16:17]
	s_and_b64 exec, exec, vcc
	s_cbranch_execz .LBB1_142
; %bb.222:                              ;   in Loop: Header=BB1_143 Depth=1
	s_mov_b64 s[0:1], 0
.LBB1_223:                              ;   Parent Loop BB1_143 Depth=1
                                        ; =>  This Inner Loop Header: Depth=2
	s_sleep 1
	global_store_dwordx2 v[8:9], v[14:15], off
	buffer_wbl2 sc0 sc1
	s_waitcnt vmcnt(0)
	global_atomic_cmpswap_x2 v[16:17], v35, v[12:15], s[2:3] offset:24 sc0 sc1
	s_waitcnt vmcnt(0)
	v_cmp_eq_u64_e32 vcc, v[16:17], v[14:15]
	s_or_b64 s[0:1], vcc, s[0:1]
	v_mov_b64_e32 v[14:15], v[16:17]
	s_andn2_b64 exec, exec, s[0:1]
	s_cbranch_execnz .LBB1_223
	s_branch .LBB1_142
.LBB1_224:
                                        ; implicit-def: $vgpr6_vgpr7
	s_cbranch_execnz .LBB1_226
	s_branch .LBB1_252
.LBB1_225:
	s_branch .LBB1_252
.LBB1_226:
	v_readfirstlane_b32 s0, v38
	s_waitcnt vmcnt(0)
	v_mov_b64_e32 v[2:3], 0
	v_cmp_eq_u32_e64 s[0:1], s0, v38
	s_and_saveexec_b64 s[4:5], s[0:1]
	s_cbranch_execz .LBB1_232
; %bb.227:
	v_mov_b32_e32 v6, 0
	global_load_dwordx2 v[10:11], v6, s[2:3] offset:24 sc0 sc1
	s_waitcnt vmcnt(0)
	buffer_inv sc0 sc1
	global_load_dwordx2 v[2:3], v6, s[2:3] offset:40
	global_load_dwordx2 v[8:9], v6, s[2:3]
	s_waitcnt vmcnt(1)
	v_and_b32_e32 v2, v2, v10
	v_and_b32_e32 v3, v3, v11
	v_mul_lo_u32 v3, v3, 24
	v_mul_hi_u32 v7, v2, 24
	v_add_u32_e32 v3, v7, v3
	v_mul_lo_u32 v2, v2, 24
	s_waitcnt vmcnt(0)
	v_lshl_add_u64 v[2:3], v[8:9], 0, v[2:3]
	global_load_dwordx2 v[8:9], v[2:3], off sc0 sc1
	s_waitcnt vmcnt(0)
	global_atomic_cmpswap_x2 v[2:3], v6, v[8:11], s[2:3] offset:24 sc0 sc1
	s_waitcnt vmcnt(0)
	buffer_inv sc0 sc1
	v_cmp_ne_u64_e32 vcc, v[2:3], v[10:11]
	s_and_saveexec_b64 s[6:7], vcc
	s_cbranch_execz .LBB1_231
; %bb.228:
	s_mov_b64 s[10:11], 0
.LBB1_229:                              ; =>This Inner Loop Header: Depth=1
	s_sleep 1
	global_load_dwordx2 v[8:9], v6, s[2:3] offset:40
	global_load_dwordx2 v[12:13], v6, s[2:3]
	v_mov_b64_e32 v[10:11], v[2:3]
	s_waitcnt vmcnt(1)
	v_and_b32_e32 v2, v8, v10
	s_waitcnt vmcnt(0)
	v_mad_u64_u32 v[2:3], s[12:13], v2, 24, v[12:13]
	v_and_b32_e32 v7, v9, v11
	v_mov_b32_e32 v8, v3
	v_mad_u64_u32 v[8:9], s[12:13], v7, 24, v[8:9]
	v_mov_b32_e32 v3, v8
	global_load_dwordx2 v[8:9], v[2:3], off sc0 sc1
	s_waitcnt vmcnt(0)
	global_atomic_cmpswap_x2 v[2:3], v6, v[8:11], s[2:3] offset:24 sc0 sc1
	s_waitcnt vmcnt(0)
	buffer_inv sc0 sc1
	v_cmp_eq_u64_e32 vcc, v[2:3], v[10:11]
	s_or_b64 s[10:11], vcc, s[10:11]
	s_andn2_b64 exec, exec, s[10:11]
	s_cbranch_execnz .LBB1_229
; %bb.230:
	s_or_b64 exec, exec, s[10:11]
.LBB1_231:
	s_or_b64 exec, exec, s[6:7]
.LBB1_232:
	s_or_b64 exec, exec, s[4:5]
	v_mov_b32_e32 v33, 0
	global_load_dwordx2 v[10:11], v33, s[2:3] offset:40
	global_load_dwordx4 v[6:9], v33, s[2:3]
	v_readfirstlane_b32 s4, v2
	v_readfirstlane_b32 s5, v3
	s_mov_b64 s[6:7], exec
	s_waitcnt vmcnt(1)
	v_readfirstlane_b32 s10, v10
	v_readfirstlane_b32 s11, v11
	s_and_b64 s[10:11], s[4:5], s[10:11]
	s_mul_i32 s12, s11, 24
	s_mul_hi_u32 s13, s10, 24
	s_add_i32 s13, s13, s12
	s_mul_i32 s12, s10, 24
	s_waitcnt vmcnt(0)
	v_lshl_add_u64 v[10:11], v[6:7], 0, s[12:13]
	s_and_saveexec_b64 s[12:13], s[0:1]
	s_cbranch_execz .LBB1_234
; %bb.233:
	v_mov_b64_e32 v[12:13], s[6:7]
	v_mov_b32_e32 v14, 2
	v_mov_b32_e32 v15, 1
	global_store_dwordx4 v[10:11], v[12:15], off offset:8
.LBB1_234:
	s_or_b64 exec, exec, s[12:13]
	s_lshl_b64 s[6:7], s[10:11], 12
	v_lshl_add_u64 v[8:9], v[8:9], 0, s[6:7]
	s_movk_i32 s6, 0xff1f
	s_mov_b32 s12, 0
	v_and_or_b32 v0, v0, s6, 32
	v_mov_b32_e32 v2, v33
	v_mov_b32_e32 v3, v33
	v_readfirstlane_b32 s6, v8
	v_readfirstlane_b32 s7, v9
	s_mov_b32 s13, s12
	s_mov_b32 s14, s12
	;; [unrolled: 1-line block ×3, first 2 shown]
	s_nop 1
	global_store_dwordx4 v32, v[0:3], s[6:7]
	s_nop 1
	v_mov_b64_e32 v[0:1], s[12:13]
	v_mov_b64_e32 v[2:3], s[14:15]
	global_store_dwordx4 v32, v[0:3], s[6:7] offset:16
	global_store_dwordx4 v32, v[0:3], s[6:7] offset:32
	;; [unrolled: 1-line block ×3, first 2 shown]
	s_and_saveexec_b64 s[6:7], s[0:1]
	s_cbranch_execz .LBB1_242
; %bb.235:
	v_mov_b32_e32 v12, 0
	global_load_dwordx2 v[16:17], v12, s[2:3] offset:32 sc0 sc1
	global_load_dwordx2 v[0:1], v12, s[2:3] offset:40
	v_mov_b32_e32 v14, s4
	v_mov_b32_e32 v15, s5
	s_waitcnt vmcnt(0)
	v_readfirstlane_b32 s10, v0
	v_readfirstlane_b32 s11, v1
	s_and_b64 s[10:11], s[10:11], s[4:5]
	s_mul_i32 s11, s11, 24
	s_mul_hi_u32 s12, s10, 24
	s_mul_i32 s10, s10, 24
	s_add_i32 s11, s12, s11
	v_lshl_add_u64 v[6:7], v[6:7], 0, s[10:11]
	global_store_dwordx2 v[6:7], v[16:17], off
	buffer_wbl2 sc0 sc1
	s_waitcnt vmcnt(0)
	global_atomic_cmpswap_x2 v[2:3], v12, v[14:17], s[2:3] offset:32 sc0 sc1
	s_waitcnt vmcnt(0)
	v_cmp_ne_u64_e32 vcc, v[2:3], v[16:17]
	s_and_saveexec_b64 s[10:11], vcc
	s_cbranch_execz .LBB1_238
; %bb.236:
	s_mov_b64 s[12:13], 0
.LBB1_237:                              ; =>This Inner Loop Header: Depth=1
	s_sleep 1
	global_store_dwordx2 v[6:7], v[2:3], off
	v_mov_b32_e32 v0, s4
	v_mov_b32_e32 v1, s5
	buffer_wbl2 sc0 sc1
	s_waitcnt vmcnt(0)
	global_atomic_cmpswap_x2 v[0:1], v12, v[0:3], s[2:3] offset:32 sc0 sc1
	s_waitcnt vmcnt(0)
	v_cmp_eq_u64_e32 vcc, v[0:1], v[2:3]
	s_or_b64 s[12:13], vcc, s[12:13]
	v_mov_b64_e32 v[2:3], v[0:1]
	s_andn2_b64 exec, exec, s[12:13]
	s_cbranch_execnz .LBB1_237
.LBB1_238:
	s_or_b64 exec, exec, s[10:11]
	v_mov_b32_e32 v3, 0
	global_load_dwordx2 v[0:1], v3, s[2:3] offset:16
	s_mov_b64 s[10:11], exec
	v_mbcnt_lo_u32_b32 v2, s10, 0
	v_mbcnt_hi_u32_b32 v2, s11, v2
	v_cmp_eq_u32_e32 vcc, 0, v2
	s_and_saveexec_b64 s[12:13], vcc
	s_cbranch_execz .LBB1_240
; %bb.239:
	s_bcnt1_i32_b64 s10, s[10:11]
	v_mov_b32_e32 v2, s10
	buffer_wbl2 sc0 sc1
	s_waitcnt vmcnt(0)
	global_atomic_add_x2 v[0:1], v[2:3], off offset:8 sc1
.LBB1_240:
	s_or_b64 exec, exec, s[12:13]
	s_waitcnt vmcnt(0)
	global_load_dwordx2 v[2:3], v[0:1], off offset:16
	s_waitcnt vmcnt(0)
	v_cmp_eq_u64_e32 vcc, 0, v[2:3]
	s_cbranch_vccnz .LBB1_242
; %bb.241:
	global_load_dword v0, v[0:1], off offset:24
	v_mov_b32_e32 v1, 0
	buffer_wbl2 sc0 sc1
	s_waitcnt vmcnt(0)
	global_store_dwordx2 v[2:3], v[0:1], off sc0 sc1
	v_and_b32_e32 v0, 0xffffff, v0
	s_nop 0
	v_readfirstlane_b32 m0, v0
	s_sendmsg sendmsg(MSG_INTERRUPT)
.LBB1_242:
	s_or_b64 exec, exec, s[6:7]
	v_lshl_add_u64 v[0:1], v[8:9], 0, v[32:33]
	s_branch .LBB1_246
.LBB1_243:                              ;   in Loop: Header=BB1_246 Depth=1
	s_or_b64 exec, exec, s[6:7]
	v_readfirstlane_b32 s6, v2
	s_cmp_eq_u32 s6, 0
	s_cbranch_scc1 .LBB1_245
; %bb.244:                              ;   in Loop: Header=BB1_246 Depth=1
	s_sleep 1
	s_cbranch_execnz .LBB1_246
	s_branch .LBB1_248
.LBB1_245:
	s_branch .LBB1_248
.LBB1_246:                              ; =>This Inner Loop Header: Depth=1
	v_mov_b32_e32 v2, 1
	s_and_saveexec_b64 s[6:7], s[0:1]
	s_cbranch_execz .LBB1_243
; %bb.247:                              ;   in Loop: Header=BB1_246 Depth=1
	global_load_dword v2, v[10:11], off offset:20 sc0 sc1
	s_waitcnt vmcnt(0)
	buffer_inv sc0 sc1
	v_and_b32_e32 v2, 1, v2
	s_branch .LBB1_243
.LBB1_248:
	global_load_dwordx2 v[6:7], v[0:1], off
	s_and_saveexec_b64 s[6:7], s[0:1]
	s_cbranch_execz .LBB1_251
; %bb.249:
	v_mov_b32_e32 v10, 0
	global_load_dwordx2 v[8:9], v10, s[2:3] offset:40
	global_load_dwordx2 v[12:13], v10, s[2:3] offset:24 sc0 sc1
	global_load_dwordx2 v[14:15], v10, s[2:3]
	s_mov_b64 s[0:1], 0
	s_waitcnt vmcnt(2)
	v_lshl_add_u64 v[0:1], v[8:9], 0, 1
	v_lshl_add_u64 v[16:17], v[0:1], 0, s[4:5]
	v_cmp_eq_u64_e32 vcc, 0, v[16:17]
	s_waitcnt vmcnt(1)
	v_mov_b32_e32 v2, v12
	v_cndmask_b32_e32 v1, v17, v1, vcc
	v_cndmask_b32_e32 v0, v16, v0, vcc
	v_and_b32_e32 v3, v1, v9
	v_and_b32_e32 v8, v0, v8
	v_mul_lo_u32 v3, v3, 24
	v_mul_hi_u32 v9, v8, 24
	v_mul_lo_u32 v8, v8, 24
	v_add_u32_e32 v9, v9, v3
	s_waitcnt vmcnt(0)
	v_lshl_add_u64 v[8:9], v[14:15], 0, v[8:9]
	global_store_dwordx2 v[8:9], v[12:13], off
	v_mov_b32_e32 v3, v13
	buffer_wbl2 sc0 sc1
	s_waitcnt vmcnt(0)
	global_atomic_cmpswap_x2 v[2:3], v10, v[0:3], s[2:3] offset:24 sc0 sc1
	s_waitcnt vmcnt(0)
	v_cmp_ne_u64_e32 vcc, v[2:3], v[12:13]
	s_and_b64 exec, exec, vcc
	s_cbranch_execz .LBB1_251
.LBB1_250:                              ; =>This Inner Loop Header: Depth=1
	s_sleep 1
	global_store_dwordx2 v[8:9], v[2:3], off
	buffer_wbl2 sc0 sc1
	s_waitcnt vmcnt(0)
	global_atomic_cmpswap_x2 v[12:13], v10, v[0:3], s[2:3] offset:24 sc0 sc1
	s_waitcnt vmcnt(0)
	v_cmp_eq_u64_e32 vcc, v[12:13], v[2:3]
	s_or_b64 s[0:1], vcc, s[0:1]
	v_mov_b64_e32 v[2:3], v[12:13]
	s_andn2_b64 exec, exec, s[0:1]
	s_cbranch_execnz .LBB1_250
.LBB1_251:
	s_or_b64 exec, exec, s[6:7]
.LBB1_252:
	v_readfirstlane_b32 s0, v38
	s_waitcnt vmcnt(0)
	v_mov_b64_e32 v[8:9], 0
	v_cmp_eq_u32_e64 s[0:1], s0, v38
	s_and_saveexec_b64 s[4:5], s[0:1]
	s_cbranch_execz .LBB1_258
; %bb.253:
	v_mov_b32_e32 v0, 0
	global_load_dwordx2 v[10:11], v0, s[2:3] offset:24 sc0 sc1
	s_waitcnt vmcnt(0)
	buffer_inv sc0 sc1
	global_load_dwordx2 v[2:3], v0, s[2:3] offset:40
	global_load_dwordx2 v[8:9], v0, s[2:3]
	s_waitcnt vmcnt(1)
	v_and_b32_e32 v1, v2, v10
	v_and_b32_e32 v2, v3, v11
	v_mul_lo_u32 v2, v2, 24
	v_mul_hi_u32 v3, v1, 24
	v_add_u32_e32 v3, v3, v2
	v_mul_lo_u32 v2, v1, 24
	s_waitcnt vmcnt(0)
	v_lshl_add_u64 v[2:3], v[8:9], 0, v[2:3]
	global_load_dwordx2 v[8:9], v[2:3], off sc0 sc1
	s_waitcnt vmcnt(0)
	global_atomic_cmpswap_x2 v[8:9], v0, v[8:11], s[2:3] offset:24 sc0 sc1
	s_waitcnt vmcnt(0)
	buffer_inv sc0 sc1
	v_cmp_ne_u64_e32 vcc, v[8:9], v[10:11]
	s_and_saveexec_b64 s[6:7], vcc
	s_cbranch_execz .LBB1_257
; %bb.254:
	s_mov_b64 s[10:11], 0
.LBB1_255:                              ; =>This Inner Loop Header: Depth=1
	s_sleep 1
	global_load_dwordx2 v[2:3], v0, s[2:3] offset:40
	global_load_dwordx2 v[12:13], v0, s[2:3]
	v_mov_b64_e32 v[10:11], v[8:9]
	s_waitcnt vmcnt(1)
	v_and_b32_e32 v2, v2, v10
	v_and_b32_e32 v1, v3, v11
	s_waitcnt vmcnt(0)
	v_mad_u64_u32 v[2:3], s[12:13], v2, 24, v[12:13]
	v_mov_b32_e32 v8, v3
	v_mad_u64_u32 v[8:9], s[12:13], v1, 24, v[8:9]
	v_mov_b32_e32 v3, v8
	global_load_dwordx2 v[8:9], v[2:3], off sc0 sc1
	s_waitcnt vmcnt(0)
	global_atomic_cmpswap_x2 v[8:9], v0, v[8:11], s[2:3] offset:24 sc0 sc1
	s_waitcnt vmcnt(0)
	buffer_inv sc0 sc1
	v_cmp_eq_u64_e32 vcc, v[8:9], v[10:11]
	s_or_b64 s[10:11], vcc, s[10:11]
	s_andn2_b64 exec, exec, s[10:11]
	s_cbranch_execnz .LBB1_255
; %bb.256:
	s_or_b64 exec, exec, s[10:11]
.LBB1_257:
	s_or_b64 exec, exec, s[6:7]
.LBB1_258:
	s_or_b64 exec, exec, s[4:5]
	v_mov_b32_e32 v33, 0
	global_load_dwordx2 v[10:11], v33, s[2:3] offset:40
	global_load_dwordx4 v[0:3], v33, s[2:3]
	v_readfirstlane_b32 s4, v8
	v_readfirstlane_b32 s5, v9
	s_mov_b64 s[6:7], exec
	s_waitcnt vmcnt(1)
	v_readfirstlane_b32 s10, v10
	v_readfirstlane_b32 s11, v11
	s_and_b64 s[10:11], s[4:5], s[10:11]
	s_mul_i32 s12, s11, 24
	s_mul_hi_u32 s13, s10, 24
	s_add_i32 s13, s13, s12
	s_mul_i32 s12, s10, 24
	s_waitcnt vmcnt(0)
	v_lshl_add_u64 v[10:11], v[0:1], 0, s[12:13]
	s_and_saveexec_b64 s[12:13], s[0:1]
	s_cbranch_execz .LBB1_260
; %bb.259:
	v_mov_b64_e32 v[12:13], s[6:7]
	v_mov_b32_e32 v14, 2
	v_mov_b32_e32 v15, 1
	global_store_dwordx4 v[10:11], v[12:15], off offset:8
.LBB1_260:
	s_or_b64 exec, exec, s[12:13]
	s_lshl_b64 s[6:7], s[10:11], 12
	v_lshl_add_u64 v[12:13], v[2:3], 0, s[6:7]
	s_movk_i32 s6, 0xff1f
	s_mov_b32 s12, 0
	v_and_or_b32 v6, v6, s6, 32
	v_mov_b32_e32 v8, 0x331
	v_mov_b32_e32 v9, v33
	v_readfirstlane_b32 s6, v12
	v_readfirstlane_b32 s7, v13
	s_mov_b32 s13, s12
	s_mov_b32 s14, s12
	;; [unrolled: 1-line block ×3, first 2 shown]
	s_nop 1
	global_store_dwordx4 v32, v[6:9], s[6:7]
	s_nop 1
	v_mov_b64_e32 v[6:7], s[12:13]
	v_mov_b64_e32 v[8:9], s[14:15]
	global_store_dwordx4 v32, v[6:9], s[6:7] offset:16
	global_store_dwordx4 v32, v[6:9], s[6:7] offset:32
	;; [unrolled: 1-line block ×3, first 2 shown]
	s_and_saveexec_b64 s[6:7], s[0:1]
	s_cbranch_execz .LBB1_268
; %bb.261:
	v_mov_b32_e32 v8, 0
	global_load_dwordx2 v[16:17], v8, s[2:3] offset:32 sc0 sc1
	global_load_dwordx2 v[2:3], v8, s[2:3] offset:40
	v_mov_b32_e32 v14, s4
	v_mov_b32_e32 v15, s5
	s_waitcnt vmcnt(0)
	v_readfirstlane_b32 s10, v2
	v_readfirstlane_b32 s11, v3
	s_and_b64 s[10:11], s[10:11], s[4:5]
	s_mul_i32 s11, s11, 24
	s_mul_hi_u32 s12, s10, 24
	s_mul_i32 s10, s10, 24
	s_add_i32 s11, s12, s11
	v_lshl_add_u64 v[6:7], v[0:1], 0, s[10:11]
	global_store_dwordx2 v[6:7], v[16:17], off
	buffer_wbl2 sc0 sc1
	s_waitcnt vmcnt(0)
	global_atomic_cmpswap_x2 v[2:3], v8, v[14:17], s[2:3] offset:32 sc0 sc1
	s_waitcnt vmcnt(0)
	v_cmp_ne_u64_e32 vcc, v[2:3], v[16:17]
	s_and_saveexec_b64 s[10:11], vcc
	s_cbranch_execz .LBB1_264
; %bb.262:
	s_mov_b64 s[12:13], 0
.LBB1_263:                              ; =>This Inner Loop Header: Depth=1
	s_sleep 1
	global_store_dwordx2 v[6:7], v[2:3], off
	v_mov_b32_e32 v0, s4
	v_mov_b32_e32 v1, s5
	buffer_wbl2 sc0 sc1
	s_waitcnt vmcnt(0)
	global_atomic_cmpswap_x2 v[0:1], v8, v[0:3], s[2:3] offset:32 sc0 sc1
	s_waitcnt vmcnt(0)
	v_cmp_eq_u64_e32 vcc, v[0:1], v[2:3]
	s_or_b64 s[12:13], vcc, s[12:13]
	v_mov_b64_e32 v[2:3], v[0:1]
	s_andn2_b64 exec, exec, s[12:13]
	s_cbranch_execnz .LBB1_263
.LBB1_264:
	s_or_b64 exec, exec, s[10:11]
	v_mov_b32_e32 v3, 0
	global_load_dwordx2 v[0:1], v3, s[2:3] offset:16
	s_mov_b64 s[10:11], exec
	v_mbcnt_lo_u32_b32 v2, s10, 0
	v_mbcnt_hi_u32_b32 v2, s11, v2
	v_cmp_eq_u32_e32 vcc, 0, v2
	s_and_saveexec_b64 s[12:13], vcc
	s_cbranch_execz .LBB1_266
; %bb.265:
	s_bcnt1_i32_b64 s10, s[10:11]
	v_mov_b32_e32 v2, s10
	buffer_wbl2 sc0 sc1
	s_waitcnt vmcnt(0)
	global_atomic_add_x2 v[0:1], v[2:3], off offset:8 sc1
.LBB1_266:
	s_or_b64 exec, exec, s[12:13]
	s_waitcnt vmcnt(0)
	global_load_dwordx2 v[2:3], v[0:1], off offset:16
	s_waitcnt vmcnt(0)
	v_cmp_eq_u64_e32 vcc, 0, v[2:3]
	s_cbranch_vccnz .LBB1_268
; %bb.267:
	global_load_dword v0, v[0:1], off offset:24
	v_mov_b32_e32 v1, 0
	buffer_wbl2 sc0 sc1
	s_waitcnt vmcnt(0)
	global_store_dwordx2 v[2:3], v[0:1], off sc0 sc1
	v_and_b32_e32 v0, 0xffffff, v0
	s_nop 0
	v_readfirstlane_b32 m0, v0
	s_sendmsg sendmsg(MSG_INTERRUPT)
.LBB1_268:
	s_or_b64 exec, exec, s[6:7]
	v_lshl_add_u64 v[0:1], v[12:13], 0, v[32:33]
	s_branch .LBB1_272
.LBB1_269:                              ;   in Loop: Header=BB1_272 Depth=1
	s_or_b64 exec, exec, s[6:7]
	v_readfirstlane_b32 s6, v2
	s_cmp_eq_u32 s6, 0
	s_cbranch_scc1 .LBB1_271
; %bb.270:                              ;   in Loop: Header=BB1_272 Depth=1
	s_sleep 1
	s_cbranch_execnz .LBB1_272
	s_branch .LBB1_274
.LBB1_271:
	s_branch .LBB1_274
.LBB1_272:                              ; =>This Inner Loop Header: Depth=1
	v_mov_b32_e32 v2, 1
	s_and_saveexec_b64 s[6:7], s[0:1]
	s_cbranch_execz .LBB1_269
; %bb.273:                              ;   in Loop: Header=BB1_272 Depth=1
	global_load_dword v2, v[10:11], off offset:20 sc0 sc1
	s_waitcnt vmcnt(0)
	buffer_inv sc0 sc1
	v_and_b32_e32 v2, 1, v2
	s_branch .LBB1_269
.LBB1_274:
	global_load_dwordx2 v[0:1], v[0:1], off
	s_and_saveexec_b64 s[6:7], s[0:1]
	s_cbranch_execz .LBB1_277
; %bb.275:
	v_mov_b32_e32 v10, 0
	global_load_dwordx2 v[2:3], v10, s[2:3] offset:40
	global_load_dwordx2 v[12:13], v10, s[2:3] offset:24 sc0 sc1
	global_load_dwordx2 v[14:15], v10, s[2:3]
	s_mov_b64 s[0:1], 0
	s_waitcnt vmcnt(2)
	v_lshl_add_u64 v[6:7], v[2:3], 0, 1
	v_lshl_add_u64 v[16:17], v[6:7], 0, s[4:5]
	v_cmp_eq_u64_e32 vcc, 0, v[16:17]
	s_waitcnt vmcnt(1)
	v_mov_b32_e32 v8, v12
	v_cndmask_b32_e32 v7, v17, v7, vcc
	v_cndmask_b32_e32 v6, v16, v6, vcc
	v_and_b32_e32 v3, v7, v3
	v_and_b32_e32 v2, v6, v2
	v_mul_lo_u32 v3, v3, 24
	v_mul_hi_u32 v9, v2, 24
	v_mul_lo_u32 v2, v2, 24
	v_add_u32_e32 v3, v9, v3
	s_waitcnt vmcnt(0)
	v_lshl_add_u64 v[2:3], v[14:15], 0, v[2:3]
	global_store_dwordx2 v[2:3], v[12:13], off
	v_mov_b32_e32 v9, v13
	buffer_wbl2 sc0 sc1
	s_waitcnt vmcnt(0)
	global_atomic_cmpswap_x2 v[8:9], v10, v[6:9], s[2:3] offset:24 sc0 sc1
	s_waitcnt vmcnt(0)
	v_cmp_ne_u64_e32 vcc, v[8:9], v[12:13]
	s_and_b64 exec, exec, vcc
	s_cbranch_execz .LBB1_277
.LBB1_276:                              ; =>This Inner Loop Header: Depth=1
	s_sleep 1
	global_store_dwordx2 v[2:3], v[8:9], off
	buffer_wbl2 sc0 sc1
	s_waitcnt vmcnt(0)
	global_atomic_cmpswap_x2 v[12:13], v10, v[6:9], s[2:3] offset:24 sc0 sc1
	s_waitcnt vmcnt(0)
	v_cmp_eq_u64_e32 vcc, v[12:13], v[8:9]
	s_or_b64 s[0:1], vcc, s[0:1]
	v_mov_b64_e32 v[8:9], v[12:13]
	s_andn2_b64 exec, exec, s[0:1]
	s_cbranch_execnz .LBB1_276
.LBB1_277:
	s_or_b64 exec, exec, s[6:7]
	s_mov_b64 s[0:1], 0
	v_mov_b64_e32 v[2:3], v[4:5]
.LBB1_278:                              ; =>This Inner Loop Header: Depth=1
	flat_load_ubyte v6, v[2:3]
	v_lshl_add_u64 v[2:3], v[2:3], 0, 1
	s_waitcnt vmcnt(0) lgkmcnt(0)
	v_cmp_eq_u16_e32 vcc, 0, v6
	s_or_b64 s[0:1], vcc, s[0:1]
	s_andn2_b64 exec, exec, s[0:1]
	s_cbranch_execnz .LBB1_278
; %bb.279:
	s_or_b64 exec, exec, s[0:1]
	s_mov_b64 s[4:5], 0
	v_cmp_ne_u64_e32 vcc, 0, v[4:5]
	s_and_saveexec_b64 s[0:1], vcc
	s_xor_b64 s[6:7], exec, s[0:1]
	s_cbranch_execz .LBB1_365
; %bb.280:
	v_sub_u32_e32 v26, v2, v4
	v_ashrrev_i32_e32 v27, 31, v26
	v_and_b32_e32 v28, 2, v0
	v_mov_b32_e32 v33, 0
	v_and_b32_e32 v0, -3, v0
	s_mov_b32 s18, 0
	s_movk_i32 s19, 0xff1f
	v_mov_b32_e32 v8, 2
	v_mov_b32_e32 v9, 1
	s_branch .LBB1_282
.LBB1_281:                              ;   in Loop: Header=BB1_282 Depth=1
	s_or_b64 exec, exec, s[12:13]
	v_sub_co_u32_e32 v26, vcc, v26, v30
	v_lshl_add_u64 v[4:5], v[4:5], 0, v[30:31]
	s_nop 0
	v_subb_co_u32_e32 v27, vcc, v27, v31, vcc
	v_cmp_eq_u64_e32 vcc, 0, v[26:27]
	s_or_b64 s[4:5], vcc, s[4:5]
	s_andn2_b64 exec, exec, s[4:5]
	s_cbranch_execz .LBB1_364
.LBB1_282:                              ; =>This Loop Header: Depth=1
                                        ;     Child Loop BB1_285 Depth 2
                                        ;     Child Loop BB1_293 Depth 2
	;; [unrolled: 1-line block ×11, first 2 shown]
	v_cmp_gt_u64_e32 vcc, 56, v[26:27]
                                        ; implicit-def: $vgpr2_vgpr3
                                        ; implicit-def: $sgpr10
	s_nop 1
	v_cndmask_b32_e32 v31, 0, v27, vcc
	v_cndmask_b32_e32 v30, 56, v26, vcc
	v_cmp_gt_u64_e32 vcc, 8, v[26:27]
	s_and_saveexec_b64 s[0:1], vcc
	s_xor_b64 s[0:1], exec, s[0:1]
	s_cbranch_execz .LBB1_288
; %bb.283:                              ;   in Loop: Header=BB1_282 Depth=1
	s_mov_b64 s[12:13], 0
	v_cmp_ne_u64_e32 vcc, 0, v[26:27]
	s_waitcnt vmcnt(0)
	v_mov_b64_e32 v[2:3], 0
	s_and_saveexec_b64 s[10:11], vcc
	s_cbranch_execz .LBB1_287
; %bb.284:                              ;   in Loop: Header=BB1_282 Depth=1
	v_lshlrev_b64 v[6:7], 3, v[30:31]
	v_mov_b64_e32 v[2:3], 0
	v_mov_b64_e32 v[10:11], v[4:5]
	s_mov_b64 s[14:15], 0
.LBB1_285:                              ;   Parent Loop BB1_282 Depth=1
                                        ; =>  This Inner Loop Header: Depth=2
	flat_load_ubyte v7, v[10:11]
	v_mov_b32_e32 v13, s18
	v_lshl_add_u64 v[10:11], v[10:11], 0, 1
	s_waitcnt vmcnt(0) lgkmcnt(0)
	v_and_b32_e32 v12, 0xffff, v7
	v_lshlrev_b64 v[12:13], s14, v[12:13]
	s_add_u32 s14, s14, 8
	s_addc_u32 s15, s15, 0
	v_cmp_eq_u32_e32 vcc, s14, v6
	v_or_b32_e32 v3, v13, v3
	s_or_b64 s[12:13], vcc, s[12:13]
	v_or_b32_e32 v2, v12, v2
	s_andn2_b64 exec, exec, s[12:13]
	s_cbranch_execnz .LBB1_285
; %bb.286:                              ;   in Loop: Header=BB1_282 Depth=1
	s_or_b64 exec, exec, s[12:13]
.LBB1_287:                              ;   in Loop: Header=BB1_282 Depth=1
	s_or_b64 exec, exec, s[10:11]
	s_mov_b32 s10, 0
.LBB1_288:                              ;   in Loop: Header=BB1_282 Depth=1
	s_or_saveexec_b64 s[0:1], s[0:1]
	v_mov_b32_e32 v12, s10
	v_mov_b64_e32 v[6:7], v[4:5]
	s_xor_b64 exec, exec, s[0:1]
	s_cbranch_execz .LBB1_290
; %bb.289:                              ;   in Loop: Header=BB1_282 Depth=1
	s_waitcnt vmcnt(0)
	flat_load_dwordx2 v[2:3], v[4:5]
	v_add_u32_e32 v12, -8, v30
	s_waitcnt vmcnt(0) lgkmcnt(0)
	v_and_b32_e32 v6, 0xff, v3
	v_and_b32_e32 v7, 0xff00, v3
	;; [unrolled: 1-line block ×4, first 2 shown]
	v_or_b32_e32 v6, v6, v7
	v_or3_b32 v2, v2, 0, 0
	v_or3_b32 v3, v6, v10, v3
	v_lshl_add_u64 v[6:7], v[4:5], 0, 8
.LBB1_290:                              ;   in Loop: Header=BB1_282 Depth=1
	s_or_b64 exec, exec, s[0:1]
	v_cmp_gt_u32_e32 vcc, 8, v12
                                        ; implicit-def: $vgpr10_vgpr11
                                        ; implicit-def: $sgpr10
	s_and_saveexec_b64 s[0:1], vcc
	s_xor_b64 s[0:1], exec, s[0:1]
	s_cbranch_execz .LBB1_296
; %bb.291:                              ;   in Loop: Header=BB1_282 Depth=1
	v_cmp_ne_u32_e32 vcc, 0, v12
	v_mov_b64_e32 v[10:11], 0
	s_and_saveexec_b64 s[10:11], vcc
	s_cbranch_execz .LBB1_295
; %bb.292:                              ;   in Loop: Header=BB1_282 Depth=1
	s_mov_b64 s[12:13], 0
	v_mov_b64_e32 v[10:11], 0
	s_mov_b64 s[14:15], 0
	s_mov_b64 s[16:17], 0
.LBB1_293:                              ;   Parent Loop BB1_282 Depth=1
                                        ; =>  This Inner Loop Header: Depth=2
	v_lshl_add_u64 v[14:15], v[6:7], 0, s[16:17]
	flat_load_ubyte v13, v[14:15]
	s_add_u32 s16, s16, 1
	v_mov_b32_e32 v15, s18
	s_addc_u32 s17, s17, 0
	v_cmp_eq_u32_e32 vcc, s16, v12
	s_waitcnt vmcnt(0) lgkmcnt(0)
	v_and_b32_e32 v14, 0xffff, v13
	v_lshlrev_b64 v[14:15], s14, v[14:15]
	s_add_u32 s14, s14, 8
	s_addc_u32 s15, s15, 0
	v_or_b32_e32 v11, v15, v11
	s_or_b64 s[12:13], vcc, s[12:13]
	v_or_b32_e32 v10, v14, v10
	s_andn2_b64 exec, exec, s[12:13]
	s_cbranch_execnz .LBB1_293
; %bb.294:                              ;   in Loop: Header=BB1_282 Depth=1
	s_or_b64 exec, exec, s[12:13]
.LBB1_295:                              ;   in Loop: Header=BB1_282 Depth=1
	s_or_b64 exec, exec, s[10:11]
	s_mov_b32 s10, 0
                                        ; implicit-def: $vgpr12
.LBB1_296:                              ;   in Loop: Header=BB1_282 Depth=1
	s_or_saveexec_b64 s[0:1], s[0:1]
	v_mov_b32_e32 v14, s10
	s_xor_b64 exec, exec, s[0:1]
	s_cbranch_execz .LBB1_298
; %bb.297:                              ;   in Loop: Header=BB1_282 Depth=1
	flat_load_dwordx2 v[10:11], v[6:7]
	v_add_u32_e32 v14, -8, v12
	v_lshl_add_u64 v[6:7], v[6:7], 0, 8
	s_waitcnt vmcnt(0) lgkmcnt(0)
	v_and_b32_e32 v12, 0xff, v11
	v_and_b32_e32 v13, 0xff00, v11
	;; [unrolled: 1-line block ×4, first 2 shown]
	v_or_b32_e32 v12, v12, v13
	v_or3_b32 v10, v10, 0, 0
	v_or3_b32 v11, v12, v15, v11
.LBB1_298:                              ;   in Loop: Header=BB1_282 Depth=1
	s_or_b64 exec, exec, s[0:1]
	v_cmp_gt_u32_e32 vcc, 8, v14
                                        ; implicit-def: $sgpr10
	s_and_saveexec_b64 s[0:1], vcc
	s_xor_b64 s[0:1], exec, s[0:1]
	s_cbranch_execz .LBB1_304
; %bb.299:                              ;   in Loop: Header=BB1_282 Depth=1
	v_cmp_ne_u32_e32 vcc, 0, v14
	v_mov_b64_e32 v[12:13], 0
	s_and_saveexec_b64 s[10:11], vcc
	s_cbranch_execz .LBB1_303
; %bb.300:                              ;   in Loop: Header=BB1_282 Depth=1
	s_mov_b64 s[12:13], 0
	v_mov_b64_e32 v[12:13], 0
	s_mov_b64 s[14:15], 0
	s_mov_b64 s[16:17], 0
.LBB1_301:                              ;   Parent Loop BB1_282 Depth=1
                                        ; =>  This Inner Loop Header: Depth=2
	v_lshl_add_u64 v[16:17], v[6:7], 0, s[16:17]
	flat_load_ubyte v15, v[16:17]
	s_add_u32 s16, s16, 1
	v_mov_b32_e32 v17, s18
	s_addc_u32 s17, s17, 0
	v_cmp_eq_u32_e32 vcc, s16, v14
	s_waitcnt vmcnt(0) lgkmcnt(0)
	v_and_b32_e32 v16, 0xffff, v15
	v_lshlrev_b64 v[16:17], s14, v[16:17]
	s_add_u32 s14, s14, 8
	s_addc_u32 s15, s15, 0
	v_or_b32_e32 v13, v17, v13
	s_or_b64 s[12:13], vcc, s[12:13]
	v_or_b32_e32 v12, v16, v12
	s_andn2_b64 exec, exec, s[12:13]
	s_cbranch_execnz .LBB1_301
; %bb.302:                              ;   in Loop: Header=BB1_282 Depth=1
	s_or_b64 exec, exec, s[12:13]
.LBB1_303:                              ;   in Loop: Header=BB1_282 Depth=1
	s_or_b64 exec, exec, s[10:11]
	s_mov_b32 s10, 0
                                        ; implicit-def: $vgpr14
.LBB1_304:                              ;   in Loop: Header=BB1_282 Depth=1
	s_or_saveexec_b64 s[0:1], s[0:1]
	v_mov_b32_e32 v16, s10
	s_xor_b64 exec, exec, s[0:1]
	s_cbranch_execz .LBB1_306
; %bb.305:                              ;   in Loop: Header=BB1_282 Depth=1
	flat_load_dwordx2 v[12:13], v[6:7]
	v_add_u32_e32 v16, -8, v14
	v_lshl_add_u64 v[6:7], v[6:7], 0, 8
	s_waitcnt vmcnt(0) lgkmcnt(0)
	v_and_b32_e32 v14, 0xff, v13
	v_and_b32_e32 v15, 0xff00, v13
	;; [unrolled: 1-line block ×4, first 2 shown]
	v_or_b32_e32 v14, v14, v15
	v_or3_b32 v12, v12, 0, 0
	v_or3_b32 v13, v14, v17, v13
.LBB1_306:                              ;   in Loop: Header=BB1_282 Depth=1
	s_or_b64 exec, exec, s[0:1]
	v_cmp_gt_u32_e32 vcc, 8, v16
                                        ; implicit-def: $vgpr14_vgpr15
                                        ; implicit-def: $sgpr10
	s_and_saveexec_b64 s[0:1], vcc
	s_xor_b64 s[0:1], exec, s[0:1]
	s_cbranch_execz .LBB1_312
; %bb.307:                              ;   in Loop: Header=BB1_282 Depth=1
	v_cmp_ne_u32_e32 vcc, 0, v16
	v_mov_b64_e32 v[14:15], 0
	s_and_saveexec_b64 s[10:11], vcc
	s_cbranch_execz .LBB1_311
; %bb.308:                              ;   in Loop: Header=BB1_282 Depth=1
	s_mov_b64 s[12:13], 0
	v_mov_b64_e32 v[14:15], 0
	s_mov_b64 s[14:15], 0
	s_mov_b64 s[16:17], 0
.LBB1_309:                              ;   Parent Loop BB1_282 Depth=1
                                        ; =>  This Inner Loop Header: Depth=2
	v_lshl_add_u64 v[18:19], v[6:7], 0, s[16:17]
	flat_load_ubyte v17, v[18:19]
	s_add_u32 s16, s16, 1
	v_mov_b32_e32 v19, s18
	s_addc_u32 s17, s17, 0
	v_cmp_eq_u32_e32 vcc, s16, v16
	s_waitcnt vmcnt(0) lgkmcnt(0)
	v_and_b32_e32 v18, 0xffff, v17
	v_lshlrev_b64 v[18:19], s14, v[18:19]
	s_add_u32 s14, s14, 8
	s_addc_u32 s15, s15, 0
	v_or_b32_e32 v15, v19, v15
	s_or_b64 s[12:13], vcc, s[12:13]
	v_or_b32_e32 v14, v18, v14
	s_andn2_b64 exec, exec, s[12:13]
	s_cbranch_execnz .LBB1_309
; %bb.310:                              ;   in Loop: Header=BB1_282 Depth=1
	s_or_b64 exec, exec, s[12:13]
.LBB1_311:                              ;   in Loop: Header=BB1_282 Depth=1
	s_or_b64 exec, exec, s[10:11]
	s_mov_b32 s10, 0
                                        ; implicit-def: $vgpr16
.LBB1_312:                              ;   in Loop: Header=BB1_282 Depth=1
	s_or_saveexec_b64 s[0:1], s[0:1]
	v_mov_b32_e32 v18, s10
	s_xor_b64 exec, exec, s[0:1]
	s_cbranch_execz .LBB1_314
; %bb.313:                              ;   in Loop: Header=BB1_282 Depth=1
	flat_load_dwordx2 v[14:15], v[6:7]
	v_add_u32_e32 v18, -8, v16
	v_lshl_add_u64 v[6:7], v[6:7], 0, 8
	s_waitcnt vmcnt(0) lgkmcnt(0)
	v_and_b32_e32 v16, 0xff, v15
	v_and_b32_e32 v17, 0xff00, v15
	;; [unrolled: 1-line block ×4, first 2 shown]
	v_or_b32_e32 v16, v16, v17
	v_or3_b32 v14, v14, 0, 0
	v_or3_b32 v15, v16, v19, v15
.LBB1_314:                              ;   in Loop: Header=BB1_282 Depth=1
	s_or_b64 exec, exec, s[0:1]
	v_cmp_gt_u32_e32 vcc, 8, v18
                                        ; implicit-def: $sgpr10
	s_and_saveexec_b64 s[0:1], vcc
	s_xor_b64 s[0:1], exec, s[0:1]
	s_cbranch_execz .LBB1_320
; %bb.315:                              ;   in Loop: Header=BB1_282 Depth=1
	v_cmp_ne_u32_e32 vcc, 0, v18
	v_mov_b64_e32 v[16:17], 0
	s_and_saveexec_b64 s[10:11], vcc
	s_cbranch_execz .LBB1_319
; %bb.316:                              ;   in Loop: Header=BB1_282 Depth=1
	s_mov_b64 s[12:13], 0
	v_mov_b64_e32 v[16:17], 0
	s_mov_b64 s[14:15], 0
	s_mov_b64 s[16:17], 0
.LBB1_317:                              ;   Parent Loop BB1_282 Depth=1
                                        ; =>  This Inner Loop Header: Depth=2
	v_lshl_add_u64 v[20:21], v[6:7], 0, s[16:17]
	flat_load_ubyte v19, v[20:21]
	s_add_u32 s16, s16, 1
	v_mov_b32_e32 v21, s18
	s_addc_u32 s17, s17, 0
	v_cmp_eq_u32_e32 vcc, s16, v18
	s_waitcnt vmcnt(0) lgkmcnt(0)
	v_and_b32_e32 v20, 0xffff, v19
	v_lshlrev_b64 v[20:21], s14, v[20:21]
	s_add_u32 s14, s14, 8
	s_addc_u32 s15, s15, 0
	v_or_b32_e32 v17, v21, v17
	s_or_b64 s[12:13], vcc, s[12:13]
	v_or_b32_e32 v16, v20, v16
	s_andn2_b64 exec, exec, s[12:13]
	s_cbranch_execnz .LBB1_317
; %bb.318:                              ;   in Loop: Header=BB1_282 Depth=1
	s_or_b64 exec, exec, s[12:13]
.LBB1_319:                              ;   in Loop: Header=BB1_282 Depth=1
	s_or_b64 exec, exec, s[10:11]
	s_mov_b32 s10, 0
                                        ; implicit-def: $vgpr18
.LBB1_320:                              ;   in Loop: Header=BB1_282 Depth=1
	s_or_saveexec_b64 s[0:1], s[0:1]
	v_mov_b32_e32 v20, s10
	s_xor_b64 exec, exec, s[0:1]
	s_cbranch_execz .LBB1_322
; %bb.321:                              ;   in Loop: Header=BB1_282 Depth=1
	flat_load_dwordx2 v[16:17], v[6:7]
	v_add_u32_e32 v20, -8, v18
	v_lshl_add_u64 v[6:7], v[6:7], 0, 8
	s_waitcnt vmcnt(0) lgkmcnt(0)
	v_and_b32_e32 v18, 0xff, v17
	v_and_b32_e32 v19, 0xff00, v17
	;; [unrolled: 1-line block ×4, first 2 shown]
	v_or_b32_e32 v18, v18, v19
	v_or3_b32 v16, v16, 0, 0
	v_or3_b32 v17, v18, v21, v17
.LBB1_322:                              ;   in Loop: Header=BB1_282 Depth=1
	s_or_b64 exec, exec, s[0:1]
	v_cmp_gt_u32_e32 vcc, 8, v20
                                        ; implicit-def: $vgpr18_vgpr19
                                        ; implicit-def: $sgpr10
	s_and_saveexec_b64 s[0:1], vcc
	s_xor_b64 s[0:1], exec, s[0:1]
	s_cbranch_execz .LBB1_328
; %bb.323:                              ;   in Loop: Header=BB1_282 Depth=1
	v_cmp_ne_u32_e32 vcc, 0, v20
	v_mov_b64_e32 v[18:19], 0
	s_and_saveexec_b64 s[10:11], vcc
	s_cbranch_execz .LBB1_327
; %bb.324:                              ;   in Loop: Header=BB1_282 Depth=1
	s_mov_b64 s[12:13], 0
	v_mov_b64_e32 v[18:19], 0
	s_mov_b64 s[14:15], 0
	s_mov_b64 s[16:17], 0
.LBB1_325:                              ;   Parent Loop BB1_282 Depth=1
                                        ; =>  This Inner Loop Header: Depth=2
	v_lshl_add_u64 v[22:23], v[6:7], 0, s[16:17]
	flat_load_ubyte v21, v[22:23]
	s_add_u32 s16, s16, 1
	v_mov_b32_e32 v23, s18
	s_addc_u32 s17, s17, 0
	v_cmp_eq_u32_e32 vcc, s16, v20
	s_waitcnt vmcnt(0) lgkmcnt(0)
	v_and_b32_e32 v22, 0xffff, v21
	v_lshlrev_b64 v[22:23], s14, v[22:23]
	s_add_u32 s14, s14, 8
	s_addc_u32 s15, s15, 0
	v_or_b32_e32 v19, v23, v19
	s_or_b64 s[12:13], vcc, s[12:13]
	v_or_b32_e32 v18, v22, v18
	s_andn2_b64 exec, exec, s[12:13]
	s_cbranch_execnz .LBB1_325
; %bb.326:                              ;   in Loop: Header=BB1_282 Depth=1
	s_or_b64 exec, exec, s[12:13]
.LBB1_327:                              ;   in Loop: Header=BB1_282 Depth=1
	s_or_b64 exec, exec, s[10:11]
	s_mov_b32 s10, 0
                                        ; implicit-def: $vgpr20
.LBB1_328:                              ;   in Loop: Header=BB1_282 Depth=1
	s_or_saveexec_b64 s[0:1], s[0:1]
	v_mov_b32_e32 v22, s10
	s_xor_b64 exec, exec, s[0:1]
	s_cbranch_execz .LBB1_330
; %bb.329:                              ;   in Loop: Header=BB1_282 Depth=1
	flat_load_dwordx2 v[18:19], v[6:7]
	v_add_u32_e32 v22, -8, v20
	v_lshl_add_u64 v[6:7], v[6:7], 0, 8
	s_waitcnt vmcnt(0) lgkmcnt(0)
	v_and_b32_e32 v20, 0xff, v19
	v_and_b32_e32 v21, 0xff00, v19
	;; [unrolled: 1-line block ×4, first 2 shown]
	v_or_b32_e32 v20, v20, v21
	v_or3_b32 v18, v18, 0, 0
	v_or3_b32 v19, v20, v23, v19
.LBB1_330:                              ;   in Loop: Header=BB1_282 Depth=1
	s_or_b64 exec, exec, s[0:1]
	v_cmp_gt_u32_e32 vcc, 8, v22
	s_and_saveexec_b64 s[0:1], vcc
	s_xor_b64 s[0:1], exec, s[0:1]
	s_cbranch_execz .LBB1_336
; %bb.331:                              ;   in Loop: Header=BB1_282 Depth=1
	v_cmp_ne_u32_e32 vcc, 0, v22
	v_mov_b64_e32 v[20:21], 0
	s_and_saveexec_b64 s[10:11], vcc
	s_cbranch_execz .LBB1_335
; %bb.332:                              ;   in Loop: Header=BB1_282 Depth=1
	s_mov_b64 s[12:13], 0
	v_mov_b64_e32 v[20:21], 0
	s_mov_b64 s[14:15], 0
.LBB1_333:                              ;   Parent Loop BB1_282 Depth=1
                                        ; =>  This Inner Loop Header: Depth=2
	flat_load_ubyte v23, v[6:7]
	v_mov_b32_e32 v25, s18
	v_add_u32_e32 v22, -1, v22
	v_cmp_eq_u32_e32 vcc, 0, v22
	v_lshl_add_u64 v[6:7], v[6:7], 0, 1
	s_waitcnt vmcnt(0) lgkmcnt(0)
	v_and_b32_e32 v24, 0xffff, v23
	v_lshlrev_b64 v[24:25], s14, v[24:25]
	s_add_u32 s14, s14, 8
	s_addc_u32 s15, s15, 0
	v_or_b32_e32 v21, v25, v21
	s_or_b64 s[12:13], vcc, s[12:13]
	v_or_b32_e32 v20, v24, v20
	s_andn2_b64 exec, exec, s[12:13]
	s_cbranch_execnz .LBB1_333
; %bb.334:                              ;   in Loop: Header=BB1_282 Depth=1
	s_or_b64 exec, exec, s[12:13]
.LBB1_335:                              ;   in Loop: Header=BB1_282 Depth=1
	s_or_b64 exec, exec, s[10:11]
                                        ; implicit-def: $vgpr6_vgpr7
.LBB1_336:                              ;   in Loop: Header=BB1_282 Depth=1
	s_andn2_saveexec_b64 s[0:1], s[0:1]
	s_cbranch_execz .LBB1_338
; %bb.337:                              ;   in Loop: Header=BB1_282 Depth=1
	flat_load_dwordx2 v[6:7], v[6:7]
	s_waitcnt vmcnt(0) lgkmcnt(0)
	v_and_b32_e32 v20, 0xff, v7
	v_and_b32_e32 v21, 0xff00, v7
	v_and_b32_e32 v22, 0xff0000, v7
	v_and_b32_e32 v7, 0xff000000, v7
	v_or_b32_e32 v20, v20, v21
	v_or3_b32 v21, v20, v22, v7
	v_or3_b32 v20, v6, 0, 0
.LBB1_338:                              ;   in Loop: Header=BB1_282 Depth=1
	s_or_b64 exec, exec, s[0:1]
	v_readfirstlane_b32 s0, v38
	v_mov_b64_e32 v[6:7], 0
	s_nop 0
	v_cmp_eq_u32_e64 s[0:1], s0, v38
	s_and_saveexec_b64 s[10:11], s[0:1]
	s_cbranch_execz .LBB1_344
; %bb.339:                              ;   in Loop: Header=BB1_282 Depth=1
	global_load_dwordx2 v[24:25], v33, s[2:3] offset:24 sc0 sc1
	s_waitcnt vmcnt(0)
	buffer_inv sc0 sc1
	global_load_dwordx2 v[6:7], v33, s[2:3] offset:40
	global_load_dwordx2 v[22:23], v33, s[2:3]
	s_waitcnt vmcnt(1)
	v_and_b32_e32 v6, v6, v24
	v_and_b32_e32 v7, v7, v25
	v_mul_lo_u32 v7, v7, 24
	v_mul_hi_u32 v29, v6, 24
	v_add_u32_e32 v7, v29, v7
	v_mul_lo_u32 v6, v6, 24
	s_waitcnt vmcnt(0)
	v_lshl_add_u64 v[6:7], v[22:23], 0, v[6:7]
	global_load_dwordx2 v[22:23], v[6:7], off sc0 sc1
	s_waitcnt vmcnt(0)
	global_atomic_cmpswap_x2 v[6:7], v33, v[22:25], s[2:3] offset:24 sc0 sc1
	s_waitcnt vmcnt(0)
	buffer_inv sc0 sc1
	v_cmp_ne_u64_e32 vcc, v[6:7], v[24:25]
	s_and_saveexec_b64 s[12:13], vcc
	s_cbranch_execz .LBB1_343
; %bb.340:                              ;   in Loop: Header=BB1_282 Depth=1
	s_mov_b64 s[14:15], 0
.LBB1_341:                              ;   Parent Loop BB1_282 Depth=1
                                        ; =>  This Inner Loop Header: Depth=2
	s_sleep 1
	global_load_dwordx2 v[22:23], v33, s[2:3] offset:40
	global_load_dwordx2 v[34:35], v33, s[2:3]
	v_mov_b64_e32 v[24:25], v[6:7]
	s_waitcnt vmcnt(1)
	v_and_b32_e32 v6, v22, v24
	s_waitcnt vmcnt(0)
	v_mad_u64_u32 v[6:7], s[16:17], v6, 24, v[34:35]
	v_and_b32_e32 v23, v23, v25
	v_mov_b32_e32 v22, v7
	v_mad_u64_u32 v[22:23], s[16:17], v23, 24, v[22:23]
	v_mov_b32_e32 v7, v22
	global_load_dwordx2 v[22:23], v[6:7], off sc0 sc1
	s_waitcnt vmcnt(0)
	global_atomic_cmpswap_x2 v[6:7], v33, v[22:25], s[2:3] offset:24 sc0 sc1
	s_waitcnt vmcnt(0)
	buffer_inv sc0 sc1
	v_cmp_eq_u64_e32 vcc, v[6:7], v[24:25]
	s_or_b64 s[14:15], vcc, s[14:15]
	s_andn2_b64 exec, exec, s[14:15]
	s_cbranch_execnz .LBB1_341
; %bb.342:                              ;   in Loop: Header=BB1_282 Depth=1
	s_or_b64 exec, exec, s[14:15]
.LBB1_343:                              ;   in Loop: Header=BB1_282 Depth=1
	s_or_b64 exec, exec, s[12:13]
.LBB1_344:                              ;   in Loop: Header=BB1_282 Depth=1
	s_or_b64 exec, exec, s[10:11]
	global_load_dwordx2 v[34:35], v33, s[2:3] offset:40
	global_load_dwordx4 v[22:25], v33, s[2:3]
	v_readfirstlane_b32 s10, v6
	v_readfirstlane_b32 s11, v7
	s_mov_b64 s[12:13], exec
	s_waitcnt vmcnt(1)
	v_readfirstlane_b32 s14, v34
	v_readfirstlane_b32 s15, v35
	s_and_b64 s[14:15], s[10:11], s[14:15]
	s_mul_i32 s16, s15, 24
	s_mul_hi_u32 s17, s14, 24
	s_add_i32 s17, s17, s16
	s_mul_i32 s16, s14, 24
	s_waitcnt vmcnt(0)
	v_lshl_add_u64 v[34:35], v[22:23], 0, s[16:17]
	s_and_saveexec_b64 s[16:17], s[0:1]
	s_cbranch_execz .LBB1_346
; %bb.345:                              ;   in Loop: Header=BB1_282 Depth=1
	v_mov_b64_e32 v[6:7], s[12:13]
	global_store_dwordx4 v[34:35], v[6:9], off offset:8
.LBB1_346:                              ;   in Loop: Header=BB1_282 Depth=1
	s_or_b64 exec, exec, s[16:17]
	s_lshl_b64 s[12:13], s[14:15], 12
	v_lshl_add_u64 v[6:7], v[24:25], 0, s[12:13]
	v_or_b32_e32 v24, 0, v1
	v_cmp_lt_u64_e32 vcc, 56, v[26:27]
	v_or_b32_e32 v25, v0, v28
	v_readfirstlane_b32 s12, v6
	v_cndmask_b32_e32 v1, v24, v1, vcc
	v_lshl_add_u32 v24, v30, 2, 28
	v_cndmask_b32_e32 v0, v25, v0, vcc
	v_and_b32_e32 v24, 0x1e0, v24
	v_and_or_b32 v0, v0, s19, v24
	v_readfirstlane_b32 s13, v7
	s_nop 4
	global_store_dwordx4 v32, v[0:3], s[12:13]
	global_store_dwordx4 v32, v[10:13], s[12:13] offset:16
	global_store_dwordx4 v32, v[14:17], s[12:13] offset:32
	;; [unrolled: 1-line block ×3, first 2 shown]
	s_and_saveexec_b64 s[12:13], s[0:1]
	s_cbranch_execz .LBB1_354
; %bb.347:                              ;   in Loop: Header=BB1_282 Depth=1
	global_load_dwordx2 v[14:15], v33, s[2:3] offset:32 sc0 sc1
	global_load_dwordx2 v[0:1], v33, s[2:3] offset:40
	v_mov_b32_e32 v12, s10
	v_mov_b32_e32 v13, s11
	s_waitcnt vmcnt(0)
	v_readfirstlane_b32 s14, v0
	v_readfirstlane_b32 s15, v1
	s_and_b64 s[14:15], s[14:15], s[10:11]
	s_mul_i32 s15, s15, 24
	s_mul_hi_u32 s16, s14, 24
	s_mul_i32 s14, s14, 24
	s_add_i32 s15, s16, s15
	v_lshl_add_u64 v[10:11], v[22:23], 0, s[14:15]
	global_store_dwordx2 v[10:11], v[14:15], off
	buffer_wbl2 sc0 sc1
	s_waitcnt vmcnt(0)
	global_atomic_cmpswap_x2 v[2:3], v33, v[12:15], s[2:3] offset:32 sc0 sc1
	s_waitcnt vmcnt(0)
	v_cmp_ne_u64_e32 vcc, v[2:3], v[14:15]
	s_and_saveexec_b64 s[14:15], vcc
	s_cbranch_execz .LBB1_350
; %bb.348:                              ;   in Loop: Header=BB1_282 Depth=1
	s_mov_b64 s[16:17], 0
.LBB1_349:                              ;   Parent Loop BB1_282 Depth=1
                                        ; =>  This Inner Loop Header: Depth=2
	s_sleep 1
	global_store_dwordx2 v[10:11], v[2:3], off
	v_mov_b32_e32 v0, s10
	v_mov_b32_e32 v1, s11
	buffer_wbl2 sc0 sc1
	s_waitcnt vmcnt(0)
	global_atomic_cmpswap_x2 v[0:1], v33, v[0:3], s[2:3] offset:32 sc0 sc1
	s_waitcnt vmcnt(0)
	v_cmp_eq_u64_e32 vcc, v[0:1], v[2:3]
	s_or_b64 s[16:17], vcc, s[16:17]
	v_mov_b64_e32 v[2:3], v[0:1]
	s_andn2_b64 exec, exec, s[16:17]
	s_cbranch_execnz .LBB1_349
.LBB1_350:                              ;   in Loop: Header=BB1_282 Depth=1
	s_or_b64 exec, exec, s[14:15]
	global_load_dwordx2 v[0:1], v33, s[2:3] offset:16
	s_mov_b64 s[16:17], exec
	v_mbcnt_lo_u32_b32 v2, s16, 0
	v_mbcnt_hi_u32_b32 v2, s17, v2
	v_cmp_eq_u32_e32 vcc, 0, v2
	s_and_saveexec_b64 s[14:15], vcc
	s_cbranch_execz .LBB1_352
; %bb.351:                              ;   in Loop: Header=BB1_282 Depth=1
	s_bcnt1_i32_b64 s16, s[16:17]
	v_mov_b32_e32 v2, s16
	v_mov_b32_e32 v3, v33
	buffer_wbl2 sc0 sc1
	s_waitcnt vmcnt(0)
	global_atomic_add_x2 v[0:1], v[2:3], off offset:8 sc1
.LBB1_352:                              ;   in Loop: Header=BB1_282 Depth=1
	s_or_b64 exec, exec, s[14:15]
	s_waitcnt vmcnt(0)
	global_load_dwordx2 v[2:3], v[0:1], off offset:16
	s_waitcnt vmcnt(0)
	v_cmp_eq_u64_e32 vcc, 0, v[2:3]
	s_cbranch_vccnz .LBB1_354
; %bb.353:                              ;   in Loop: Header=BB1_282 Depth=1
	global_load_dword v0, v[0:1], off offset:24
	v_mov_b32_e32 v1, v33
	buffer_wbl2 sc0 sc1
	s_waitcnt vmcnt(0)
	global_store_dwordx2 v[2:3], v[0:1], off sc0 sc1
	v_and_b32_e32 v0, 0xffffff, v0
	s_nop 0
	v_readfirstlane_b32 m0, v0
	s_sendmsg sendmsg(MSG_INTERRUPT)
.LBB1_354:                              ;   in Loop: Header=BB1_282 Depth=1
	s_or_b64 exec, exec, s[12:13]
	v_lshl_add_u64 v[0:1], v[6:7], 0, v[32:33]
	s_branch .LBB1_358
.LBB1_355:                              ;   in Loop: Header=BB1_358 Depth=2
	s_or_b64 exec, exec, s[12:13]
	v_readfirstlane_b32 s12, v2
	s_cmp_eq_u32 s12, 0
	s_cbranch_scc1 .LBB1_357
; %bb.356:                              ;   in Loop: Header=BB1_358 Depth=2
	s_sleep 1
	s_cbranch_execnz .LBB1_358
	s_branch .LBB1_360
.LBB1_357:                              ;   in Loop: Header=BB1_282 Depth=1
	s_branch .LBB1_360
.LBB1_358:                              ;   Parent Loop BB1_282 Depth=1
                                        ; =>  This Inner Loop Header: Depth=2
	v_mov_b32_e32 v2, 1
	s_and_saveexec_b64 s[12:13], s[0:1]
	s_cbranch_execz .LBB1_355
; %bb.359:                              ;   in Loop: Header=BB1_358 Depth=2
	global_load_dword v2, v[34:35], off offset:20 sc0 sc1
	s_waitcnt vmcnt(0)
	buffer_inv sc0 sc1
	v_and_b32_e32 v2, 1, v2
	s_branch .LBB1_355
.LBB1_360:                              ;   in Loop: Header=BB1_282 Depth=1
	global_load_dwordx4 v[0:3], v[0:1], off
	s_and_saveexec_b64 s[12:13], s[0:1]
	s_cbranch_execz .LBB1_281
; %bb.361:                              ;   in Loop: Header=BB1_282 Depth=1
	global_load_dwordx2 v[2:3], v33, s[2:3] offset:40
	global_load_dwordx2 v[6:7], v33, s[2:3] offset:24 sc0 sc1
	global_load_dwordx2 v[14:15], v33, s[2:3]
	s_waitcnt vmcnt(2)
	v_lshl_add_u64 v[10:11], v[2:3], 0, 1
	v_lshl_add_u64 v[16:17], v[10:11], 0, s[10:11]
	v_cmp_eq_u64_e32 vcc, 0, v[16:17]
	s_waitcnt vmcnt(1)
	v_mov_b32_e32 v12, v6
	v_cndmask_b32_e32 v11, v17, v11, vcc
	v_cndmask_b32_e32 v10, v16, v10, vcc
	v_and_b32_e32 v3, v11, v3
	v_and_b32_e32 v2, v10, v2
	v_mul_lo_u32 v3, v3, 24
	v_mul_hi_u32 v13, v2, 24
	v_mul_lo_u32 v2, v2, 24
	v_add_u32_e32 v3, v13, v3
	s_waitcnt vmcnt(0)
	v_lshl_add_u64 v[2:3], v[14:15], 0, v[2:3]
	global_store_dwordx2 v[2:3], v[6:7], off
	v_mov_b32_e32 v13, v7
	buffer_wbl2 sc0 sc1
	s_waitcnt vmcnt(0)
	global_atomic_cmpswap_x2 v[12:13], v33, v[10:13], s[2:3] offset:24 sc0 sc1
	s_waitcnt vmcnt(0)
	v_cmp_ne_u64_e32 vcc, v[12:13], v[6:7]
	s_and_b64 exec, exec, vcc
	s_cbranch_execz .LBB1_281
; %bb.362:                              ;   in Loop: Header=BB1_282 Depth=1
	s_mov_b64 s[0:1], 0
.LBB1_363:                              ;   Parent Loop BB1_282 Depth=1
                                        ; =>  This Inner Loop Header: Depth=2
	s_sleep 1
	global_store_dwordx2 v[2:3], v[12:13], off
	buffer_wbl2 sc0 sc1
	s_waitcnt vmcnt(0)
	global_atomic_cmpswap_x2 v[6:7], v33, v[10:13], s[2:3] offset:24 sc0 sc1
	s_waitcnt vmcnt(0)
	v_cmp_eq_u64_e32 vcc, v[6:7], v[12:13]
	s_or_b64 s[0:1], vcc, s[0:1]
	v_mov_b64_e32 v[12:13], v[6:7]
	s_andn2_b64 exec, exec, s[0:1]
	s_cbranch_execnz .LBB1_363
	s_branch .LBB1_281
.LBB1_364:
	s_or_b64 exec, exec, s[4:5]
                                        ; implicit-def: $vgpr32
                                        ; implicit-def: $vgpr38
.LBB1_365:
	s_andn2_saveexec_b64 s[4:5], s[6:7]
	s_cbranch_execz .LBB1_392
; %bb.366:
	v_readfirstlane_b32 s0, v38
	s_waitcnt vmcnt(0)
	v_mov_b64_e32 v[2:3], 0
	v_cmp_eq_u32_e64 s[0:1], s0, v38
	s_and_saveexec_b64 s[6:7], s[0:1]
	s_cbranch_execz .LBB1_372
; %bb.367:
	v_mov_b32_e32 v4, 0
	global_load_dwordx2 v[8:9], v4, s[2:3] offset:24 sc0 sc1
	s_waitcnt vmcnt(0)
	buffer_inv sc0 sc1
	global_load_dwordx2 v[2:3], v4, s[2:3] offset:40
	global_load_dwordx2 v[6:7], v4, s[2:3]
	s_waitcnt vmcnt(1)
	v_and_b32_e32 v2, v2, v8
	v_and_b32_e32 v3, v3, v9
	v_mul_lo_u32 v3, v3, 24
	v_mul_hi_u32 v5, v2, 24
	v_add_u32_e32 v3, v5, v3
	v_mul_lo_u32 v2, v2, 24
	s_waitcnt vmcnt(0)
	v_lshl_add_u64 v[2:3], v[6:7], 0, v[2:3]
	global_load_dwordx2 v[6:7], v[2:3], off sc0 sc1
	s_waitcnt vmcnt(0)
	global_atomic_cmpswap_x2 v[2:3], v4, v[6:9], s[2:3] offset:24 sc0 sc1
	s_waitcnt vmcnt(0)
	buffer_inv sc0 sc1
	v_cmp_ne_u64_e32 vcc, v[2:3], v[8:9]
	s_and_saveexec_b64 s[10:11], vcc
	s_cbranch_execz .LBB1_371
; %bb.368:
	s_mov_b64 s[12:13], 0
.LBB1_369:                              ; =>This Inner Loop Header: Depth=1
	s_sleep 1
	global_load_dwordx2 v[6:7], v4, s[2:3] offset:40
	global_load_dwordx2 v[10:11], v4, s[2:3]
	v_mov_b64_e32 v[8:9], v[2:3]
	s_waitcnt vmcnt(1)
	v_and_b32_e32 v2, v6, v8
	s_waitcnt vmcnt(0)
	v_mad_u64_u32 v[2:3], s[14:15], v2, 24, v[10:11]
	v_and_b32_e32 v5, v7, v9
	v_mov_b32_e32 v6, v3
	v_mad_u64_u32 v[6:7], s[14:15], v5, 24, v[6:7]
	v_mov_b32_e32 v3, v6
	global_load_dwordx2 v[6:7], v[2:3], off sc0 sc1
	s_waitcnt vmcnt(0)
	global_atomic_cmpswap_x2 v[2:3], v4, v[6:9], s[2:3] offset:24 sc0 sc1
	s_waitcnt vmcnt(0)
	buffer_inv sc0 sc1
	v_cmp_eq_u64_e32 vcc, v[2:3], v[8:9]
	s_or_b64 s[12:13], vcc, s[12:13]
	s_andn2_b64 exec, exec, s[12:13]
	s_cbranch_execnz .LBB1_369
; %bb.370:
	s_or_b64 exec, exec, s[12:13]
.LBB1_371:
	s_or_b64 exec, exec, s[10:11]
.LBB1_372:
	s_or_b64 exec, exec, s[6:7]
	v_mov_b32_e32 v33, 0
	global_load_dwordx2 v[8:9], v33, s[2:3] offset:40
	global_load_dwordx4 v[4:7], v33, s[2:3]
	v_readfirstlane_b32 s6, v2
	v_readfirstlane_b32 s7, v3
	s_mov_b64 s[10:11], exec
	s_waitcnt vmcnt(1)
	v_readfirstlane_b32 s12, v8
	v_readfirstlane_b32 s13, v9
	s_and_b64 s[12:13], s[6:7], s[12:13]
	s_mul_i32 s14, s13, 24
	s_mul_hi_u32 s15, s12, 24
	s_add_i32 s15, s15, s14
	s_mul_i32 s14, s12, 24
	s_waitcnt vmcnt(0)
	v_lshl_add_u64 v[8:9], v[4:5], 0, s[14:15]
	s_and_saveexec_b64 s[14:15], s[0:1]
	s_cbranch_execz .LBB1_374
; %bb.373:
	v_mov_b64_e32 v[10:11], s[10:11]
	v_mov_b32_e32 v12, 2
	v_mov_b32_e32 v13, 1
	global_store_dwordx4 v[8:9], v[10:13], off offset:8
.LBB1_374:
	s_or_b64 exec, exec, s[14:15]
	s_lshl_b64 s[10:11], s[12:13], 12
	v_lshl_add_u64 v[6:7], v[6:7], 0, s[10:11]
	s_movk_i32 s10, 0xff1f
	s_mov_b32 s12, 0
	v_and_or_b32 v0, v0, s10, 32
	v_mov_b32_e32 v2, v33
	v_mov_b32_e32 v3, v33
	v_readfirstlane_b32 s10, v6
	v_readfirstlane_b32 s11, v7
	s_mov_b32 s13, s12
	s_mov_b32 s14, s12
	s_mov_b32 s15, s12
	s_nop 1
	global_store_dwordx4 v32, v[0:3], s[10:11]
	s_nop 1
	v_mov_b64_e32 v[0:1], s[12:13]
	v_mov_b64_e32 v[2:3], s[14:15]
	global_store_dwordx4 v32, v[0:3], s[10:11] offset:16
	global_store_dwordx4 v32, v[0:3], s[10:11] offset:32
	;; [unrolled: 1-line block ×3, first 2 shown]
	s_and_saveexec_b64 s[10:11], s[0:1]
	s_cbranch_execz .LBB1_382
; %bb.375:
	v_mov_b32_e32 v10, 0
	global_load_dwordx2 v[14:15], v10, s[2:3] offset:32 sc0 sc1
	global_load_dwordx2 v[0:1], v10, s[2:3] offset:40
	v_mov_b32_e32 v12, s6
	v_mov_b32_e32 v13, s7
	s_waitcnt vmcnt(0)
	v_readfirstlane_b32 s12, v0
	v_readfirstlane_b32 s13, v1
	s_and_b64 s[12:13], s[12:13], s[6:7]
	s_mul_i32 s13, s13, 24
	s_mul_hi_u32 s14, s12, 24
	s_mul_i32 s12, s12, 24
	s_add_i32 s13, s14, s13
	v_lshl_add_u64 v[4:5], v[4:5], 0, s[12:13]
	global_store_dwordx2 v[4:5], v[14:15], off
	buffer_wbl2 sc0 sc1
	s_waitcnt vmcnt(0)
	global_atomic_cmpswap_x2 v[2:3], v10, v[12:15], s[2:3] offset:32 sc0 sc1
	s_waitcnt vmcnt(0)
	v_cmp_ne_u64_e32 vcc, v[2:3], v[14:15]
	s_and_saveexec_b64 s[12:13], vcc
	s_cbranch_execz .LBB1_378
; %bb.376:
	s_mov_b64 s[14:15], 0
.LBB1_377:                              ; =>This Inner Loop Header: Depth=1
	s_sleep 1
	global_store_dwordx2 v[4:5], v[2:3], off
	v_mov_b32_e32 v0, s6
	v_mov_b32_e32 v1, s7
	buffer_wbl2 sc0 sc1
	s_waitcnt vmcnt(0)
	global_atomic_cmpswap_x2 v[0:1], v10, v[0:3], s[2:3] offset:32 sc0 sc1
	s_waitcnt vmcnt(0)
	v_cmp_eq_u64_e32 vcc, v[0:1], v[2:3]
	s_or_b64 s[14:15], vcc, s[14:15]
	v_mov_b64_e32 v[2:3], v[0:1]
	s_andn2_b64 exec, exec, s[14:15]
	s_cbranch_execnz .LBB1_377
.LBB1_378:
	s_or_b64 exec, exec, s[12:13]
	v_mov_b32_e32 v3, 0
	global_load_dwordx2 v[0:1], v3, s[2:3] offset:16
	s_mov_b64 s[12:13], exec
	v_mbcnt_lo_u32_b32 v2, s12, 0
	v_mbcnt_hi_u32_b32 v2, s13, v2
	v_cmp_eq_u32_e32 vcc, 0, v2
	s_and_saveexec_b64 s[14:15], vcc
	s_cbranch_execz .LBB1_380
; %bb.379:
	s_bcnt1_i32_b64 s12, s[12:13]
	v_mov_b32_e32 v2, s12
	buffer_wbl2 sc0 sc1
	s_waitcnt vmcnt(0)
	global_atomic_add_x2 v[0:1], v[2:3], off offset:8 sc1
.LBB1_380:
	s_or_b64 exec, exec, s[14:15]
	s_waitcnt vmcnt(0)
	global_load_dwordx2 v[2:3], v[0:1], off offset:16
	s_waitcnt vmcnt(0)
	v_cmp_eq_u64_e32 vcc, 0, v[2:3]
	s_cbranch_vccnz .LBB1_382
; %bb.381:
	global_load_dword v0, v[0:1], off offset:24
	v_mov_b32_e32 v1, 0
	buffer_wbl2 sc0 sc1
	s_waitcnt vmcnt(0)
	global_store_dwordx2 v[2:3], v[0:1], off sc0 sc1
	v_and_b32_e32 v0, 0xffffff, v0
	s_nop 0
	v_readfirstlane_b32 m0, v0
	s_sendmsg sendmsg(MSG_INTERRUPT)
.LBB1_382:
	s_or_b64 exec, exec, s[10:11]
	v_lshl_add_u64 v[0:1], v[6:7], 0, v[32:33]
	s_branch .LBB1_386
.LBB1_383:                              ;   in Loop: Header=BB1_386 Depth=1
	s_or_b64 exec, exec, s[10:11]
	v_readfirstlane_b32 s10, v2
	s_cmp_eq_u32 s10, 0
	s_cbranch_scc1 .LBB1_385
; %bb.384:                              ;   in Loop: Header=BB1_386 Depth=1
	s_sleep 1
	s_cbranch_execnz .LBB1_386
	s_branch .LBB1_388
.LBB1_385:
	s_branch .LBB1_388
.LBB1_386:                              ; =>This Inner Loop Header: Depth=1
	v_mov_b32_e32 v2, 1
	s_and_saveexec_b64 s[10:11], s[0:1]
	s_cbranch_execz .LBB1_383
; %bb.387:                              ;   in Loop: Header=BB1_386 Depth=1
	global_load_dword v2, v[8:9], off offset:20 sc0 sc1
	s_waitcnt vmcnt(0)
	buffer_inv sc0 sc1
	v_and_b32_e32 v2, 1, v2
	s_branch .LBB1_383
.LBB1_388:
	global_load_dwordx2 v[0:1], v[0:1], off
	s_and_saveexec_b64 s[10:11], s[0:1]
	s_cbranch_execz .LBB1_391
; %bb.389:
	v_mov_b32_e32 v8, 0
	global_load_dwordx2 v[6:7], v8, s[2:3] offset:40
	global_load_dwordx2 v[10:11], v8, s[2:3] offset:24 sc0 sc1
	global_load_dwordx2 v[12:13], v8, s[2:3]
	s_mov_b64 s[0:1], 0
	s_waitcnt vmcnt(2)
	v_lshl_add_u64 v[2:3], v[6:7], 0, 1
	v_lshl_add_u64 v[14:15], v[2:3], 0, s[6:7]
	v_cmp_eq_u64_e32 vcc, 0, v[14:15]
	s_waitcnt vmcnt(1)
	v_mov_b32_e32 v4, v10
	v_cndmask_b32_e32 v3, v15, v3, vcc
	v_cndmask_b32_e32 v2, v14, v2, vcc
	v_and_b32_e32 v5, v3, v7
	v_and_b32_e32 v6, v2, v6
	v_mul_lo_u32 v5, v5, 24
	v_mul_hi_u32 v7, v6, 24
	v_mul_lo_u32 v6, v6, 24
	v_add_u32_e32 v7, v7, v5
	s_waitcnt vmcnt(0)
	v_lshl_add_u64 v[6:7], v[12:13], 0, v[6:7]
	global_store_dwordx2 v[6:7], v[10:11], off
	v_mov_b32_e32 v5, v11
	buffer_wbl2 sc0 sc1
	s_waitcnt vmcnt(0)
	global_atomic_cmpswap_x2 v[4:5], v8, v[2:5], s[2:3] offset:24 sc0 sc1
	s_waitcnt vmcnt(0)
	v_cmp_ne_u64_e32 vcc, v[4:5], v[10:11]
	s_and_b64 exec, exec, vcc
	s_cbranch_execz .LBB1_391
.LBB1_390:                              ; =>This Inner Loop Header: Depth=1
	s_sleep 1
	global_store_dwordx2 v[6:7], v[4:5], off
	buffer_wbl2 sc0 sc1
	s_waitcnt vmcnt(0)
	global_atomic_cmpswap_x2 v[10:11], v8, v[2:5], s[2:3] offset:24 sc0 sc1
	s_waitcnt vmcnt(0)
	v_cmp_eq_u64_e32 vcc, v[10:11], v[4:5]
	s_or_b64 s[0:1], vcc, s[0:1]
	v_mov_b64_e32 v[4:5], v[10:11]
	s_andn2_b64 exec, exec, s[0:1]
	s_cbranch_execnz .LBB1_390
.LBB1_391:
	s_or_b64 exec, exec, s[10:11]
.LBB1_392:
	s_or_b64 exec, exec, s[4:5]
	s_getpc_b64 s[0:1]
	s_add_u32 s0, s0, .str.1@rel32@lo+4
	s_addc_u32 s1, s1, .str.1@rel32@hi+12
	s_getpc_b64 s[2:3]
	s_add_u32 s2, s2, .str.1@rel32@lo+32
	s_addc_u32 s3, s3, .str.1@rel32@hi+40
	s_sub_i32 s4, s2, s0
	s_ashr_i32 s5, s4, 31
	s_waitcnt vmcnt(0)
	v_mov_b32_e32 v2, s0
	v_mov_b32_e32 v3, s1
	v_mov_b32_e32 v4, s4
	v_mov_b32_e32 v5, s5
	v_mov_b32_e32 v6, 1
	s_getpc_b64 s[2:3]
	s_add_u32 s2, s2, __ockl_fprintf_append_string_n@rel32@lo+4
	s_addc_u32 s3, s3, __ockl_fprintf_append_string_n@rel32@hi+12
	s_swappc_b64 s[30:31], s[2:3]
	s_trap 2
.Lfunc_end1:
	.size	__assert_fail, .Lfunc_end1-__assert_fail
                                        ; -- End function
	.section	.AMDGPU.csdata,"",@progbits
; Function info:
; codeLenInByte = 14360
; NumSgprs: 40
; NumVgprs: 40
; NumAgprs: 0
; TotalNumVgprs: 40
; ScratchSize: 64
; MemoryBound: 0
	.text
	.p2align	2                               ; -- Begin function _ZN12_GLOBAL__N_17runRingI19__hip_fp8_e5m2_fnuz13FuncPreMulSumIS1_E11ProtoSimpleILi1ELi1ELi0ELi1ELi0ELi0EELi0ELi1ELi0EEEviiP15ncclDevWorkColl
	.type	_ZN12_GLOBAL__N_17runRingI19__hip_fp8_e5m2_fnuz13FuncPreMulSumIS1_E11ProtoSimpleILi1ELi1ELi0ELi1ELi0ELi0EELi0ELi1ELi0EEEviiP15ncclDevWorkColl,@function
_ZN12_GLOBAL__N_17runRingI19__hip_fp8_e5m2_fnuz13FuncPreMulSumIS1_E11ProtoSimpleILi1ELi1ELi0ELi1ELi0ELi0EELi0ELi1ELi0EEEviiP15ncclDevWorkColl: ; @_ZN12_GLOBAL__N_17runRingI19__hip_fp8_e5m2_fnuz13FuncPreMulSumIS1_E11ProtoSimpleILi1ELi1ELi0ELi1ELi0ELi0EELi0ELi1ELi0EEEviiP15ncclDevWorkColl
; %bb.0:
	s_waitcnt vmcnt(0) expcnt(0) lgkmcnt(0)
	s_mov_b32 s0, s33
	s_mov_b32 s33, s32
	s_or_saveexec_b64 s[2:3], -1
	scratch_store_dword off, v63, s33 offset:164 ; 4-byte Folded Spill
	s_mov_b64 exec, s[2:3]
	v_writelane_b32 v63, s0, 40
	s_addk_i32 s32, 0xb0
	scratch_store_dword off, v40, s33 offset:152 ; 4-byte Folded Spill
	scratch_store_dword off, v41, s33 offset:148 ; 4-byte Folded Spill
	;; [unrolled: 1-line block ×38, first 2 shown]
	scratch_store_dword off, a55, s33       ; 4-byte Folded Spill
	v_writelane_b32 v63, s34, 0
	v_writelane_b32 v63, s35, 1
	v_writelane_b32 v63, s36, 2
	v_writelane_b32 v63, s37, 3
	v_writelane_b32 v63, s38, 4
	v_writelane_b32 v63, s39, 5
	v_writelane_b32 v63, s40, 6
	v_writelane_b32 v63, s41, 7
	v_writelane_b32 v63, s42, 8
	v_writelane_b32 v63, s43, 9
	v_writelane_b32 v63, s44, 10
	v_writelane_b32 v63, s45, 11
	v_writelane_b32 v63, s46, 12
	v_writelane_b32 v63, s47, 13
	v_writelane_b32 v63, s48, 14
	v_writelane_b32 v63, s49, 15
	v_writelane_b32 v63, s50, 16
	v_writelane_b32 v63, s51, 17
	v_writelane_b32 v63, s52, 18
	v_writelane_b32 v63, s53, 19
	v_writelane_b32 v63, s54, 20
	v_writelane_b32 v63, s55, 21
	v_writelane_b32 v63, s56, 22
	v_writelane_b32 v63, s57, 23
	v_writelane_b32 v63, s58, 24
	v_writelane_b32 v63, s59, 25
	v_writelane_b32 v63, s60, 26
	v_writelane_b32 v63, s61, 27
	v_writelane_b32 v63, s62, 28
	v_writelane_b32 v63, s63, 29
	v_writelane_b32 v63, s64, 30
	v_writelane_b32 v63, s65, 31
	v_writelane_b32 v63, s66, 32
	v_writelane_b32 v63, s67, 33
	v_writelane_b32 v63, s68, 34
	v_writelane_b32 v63, s69, 35
	v_writelane_b32 v63, s70, 36
	v_writelane_b32 v63, s71, 37
	v_writelane_b32 v63, s30, 38
	s_nop 1
	v_writelane_b32 v63, s31, 39
	v_mov_b32_e32 v61, v1
	s_trap 2
	ds_read_b64 v[14:15], v0
	ds_read_b32 v1, v0
	flat_load_ushort v17, v[2:3] offset:8
	flat_load_dwordx2 v[8:9], v[2:3]
	v_accvgpr_write_b32 a1, v31
	v_mov_b32_e32 v47, v0
	s_waitcnt lgkmcnt(0)
	v_ashrrev_i32_e32 v5, 31, v15
	v_mov_b32_e32 v4, v15
	v_lshlrev_b64 v[4:5], 2, v[4:5]
	v_lshl_add_u64 v[4:5], v[14:15], 0, v[4:5]
	v_add_co_u32_e32 v4, vcc, -4, v4
                                        ; implicit-def: $vgpr32_vgpr33
                                        ; implicit-def: $vgpr36_vgpr37
                                        ; implicit-def: $vgpr48_vgpr49
	s_waitcnt vmcnt(0)
	v_mov_b32_e32 v16, v9
	v_addc_co_u32_e32 v5, vcc, -1, v5, vcc
	flat_load_dword v24, v[4:5]
	v_cmp_ne_u32_sdwa s[0:1], v8, v1 src0_sel:BYTE_0 src1_sel:DWORD
	s_and_saveexec_b64 s[2:3], s[0:1]
	s_xor_b64 s[0:1], exec, s[2:3]
	s_cbranch_execz .LBB2_6
; %bb.1:
	v_not_b32_sdwa v0, v8 dst_sel:DWORD dst_unused:UNUSED_PAD src0_sel:BYTE_0
	v_cmp_ne_u32_sdwa s[2:3], v8, v1 src0_sel:BYTE_1 src1_sel:DWORD
                                        ; implicit-def: $vgpr32_vgpr33
                                        ; implicit-def: $vgpr36_vgpr37
                                        ; implicit-def: $vgpr48_vgpr49
	s_and_saveexec_b64 s[4:5], s[2:3]
	s_xor_b64 s[2:3], exec, s[4:5]
	s_cbranch_execz .LBB2_3
; %bb.2:
	flat_load_dwordx4 v[4:7], v[2:3] offset:72
	flat_load_dwordx2 v[8:9], v[2:3] offset:96
	v_add_u32_e32 v0, v1, v0
	v_ashrrev_i32_e32 v1, 31, v0
	s_waitcnt vmcnt(0) lgkmcnt(0)
	v_mul_lo_u32 v1, v6, v1
	v_mad_u64_u32 v[48:49], s[4:5], v6, v0, v[4:5]
	v_mul_lo_u32 v0, v7, v0
	v_lshrrev_b64 v[32:33], 12, v[8:9]
	v_add3_u32 v49, v0, v49, v1
	v_mov_b64_e32 v[36:37], v[6:7]
                                        ; implicit-def: $vgpr8
                                        ; implicit-def: $vgpr0
.LBB2_3:
	s_andn2_saveexec_b64 s[2:3], s[2:3]
	s_cbranch_execz .LBB2_5
; %bb.4:
	flat_load_dwordx4 v[4:7], v[2:3] offset:72
	flat_load_dwordx4 v[36:39], v[2:3] offset:88
	v_add_u32_sdwa v0, v8, v0 dst_sel:DWORD dst_unused:UNUSED_PAD src0_sel:BYTE_1 src1_sel:DWORD
	v_ashrrev_i32_e32 v1, 31, v0
	s_waitcnt vmcnt(0) lgkmcnt(0)
	v_mul_lo_u32 v1, v6, v1
	v_mad_u64_u32 v[48:49], s[4:5], v6, v0, v[4:5]
	v_mul_lo_u32 v0, v7, v0
	v_add3_u32 v49, v0, v49, v1
	v_lshrrev_b32_e32 v32, 1, v39
.LBB2_5:
	s_or_b64 exec, exec, s[2:3]
.LBB2_6:
	s_andn2_saveexec_b64 s[0:1], s[0:1]
	s_cbranch_execz .LBB2_8
; %bb.7:
	flat_load_dwordx2 v[0:1], v[2:3] offset:96
	flat_load_dwordx2 v[36:37], v[2:3] offset:72
	v_mov_b64_e32 v[48:49], 0
	s_waitcnt vmcnt(0) lgkmcnt(0)
	v_lshlrev_b64 v[32:33], 9, v[0:1]
.LBB2_8:
	s_or_b64 exec, exec, s[0:1]
	s_trap 2
	ds_read_b64 v[0:1], v0
	s_waitcnt lgkmcnt(0)
	v_cmp_ne_u32_e32 vcc, -1, v0
	s_nop 1
	v_cndmask_b32_e64 v15, 0, 1, vcc
	v_cmp_ne_u32_e32 vcc, -1, v1
	s_nop 1
	v_addc_co_u32_e64 v0, s[0:1], 0, v15, vcc
	v_lshlrev_b32_e32 v1, 1, v0
	v_cmp_le_i32_e64 s[0:1], v1, v61
	s_and_saveexec_b64 s[2:3], s[0:1]
	s_xor_b64 s[44:45], exec, s[2:3]
	s_cbranch_execz .LBB2_596
; %bb.9:
	flat_load_dwordx4 v[10:13], v[2:3] offset:16
	flat_load_dwordx2 v[34:35], v[2:3] offset:104
	s_trap 2
	s_load_dword s0, s[8:9], 0x0
	v_mov_b32_e32 v1, 0
	v_mov_b32_e32 v60, 4
	s_waitcnt lgkmcnt(0)
	s_cmp_lt_u32 s12, s0
	s_cselect_b32 s0, 12, 18
	s_add_u32 s0, s8, s0
	s_addc_u32 s1, s9, 0
	global_load_ushort a2, v1, s[0:1]
	ds_read_b32 v1, v0
	v_cmp_ge_i32_e64 s[0:1], v47, v15
	s_waitcnt lgkmcnt(0)
	v_readfirstlane_b32 s60, v1
	s_and_saveexec_b64 s[2:3], s[0:1]
	s_cbranch_execz .LBB2_19
; %bb.10:
	v_cmp_le_u32_e64 s[0:1], v0, v47
                                        ; implicit-def: $vgpr60
	s_and_saveexec_b64 s[4:5], s[0:1]
	s_xor_b64 s[0:1], exec, s[4:5]
	s_cbranch_execz .LBB2_16
; %bb.11:
	v_cndmask_b32_e64 v1, 0, 1, vcc
	v_sub_u32_e32 v1, v61, v1
	v_cmp_ge_u32_e32 vcc, v47, v1
                                        ; implicit-def: $sgpr6
	s_and_saveexec_b64 s[4:5], vcc
	s_xor_b64 s[4:5], exec, s[4:5]
; %bb.12:
	s_mov_b32 s6, 16
                                        ; implicit-def: $vgpr0
; %bb.13:
	s_or_saveexec_b64 s[4:5], s[4:5]
	v_mov_b32_e32 v60, s6
	s_xor_b64 exec, exec, s[4:5]
; %bb.14:
	v_sub_u32_e32 v0, v61, v0
	v_cmp_ge_i32_e32 vcc, v47, v0
	s_nop 1
	v_cndmask_b32_e64 v0, 0, 1, vcc
	v_lshlrev_b32_e32 v60, 5, v0
; %bb.15:
	s_or_b64 exec, exec, s[4:5]
.LBB2_16:
	s_andn2_saveexec_b64 s[0:1], s[0:1]
; %bb.17:
	v_mov_b32_e32 v60, 8
; %bb.18:
	s_or_b64 exec, exec, s[0:1]
.LBB2_19:
	s_or_b64 exec, exec, s[2:3]
	v_and_b32_e32 v0, 36, v60
	v_cmp_ne_u32_e32 vcc, 0, v0
	v_mov_b32_e32 v38, -1
	s_and_saveexec_b64 s[0:1], vcc
	s_cbranch_execz .LBB2_21
; %bb.20:
	s_trap 2
	ds_read_b32 v38, v0
.LBB2_21:
	s_or_b64 exec, exec, s[0:1]
	v_and_b32_e32 v0, 24, v60
	v_cmp_ne_u32_e64 s[0:1], 0, v0
	s_and_saveexec_b64 s[2:3], s[0:1]
	s_cbranch_execz .LBB2_23
; %bb.22:
	s_trap 2
	s_waitcnt lgkmcnt(0)
	ds_read_b32 v38, v0
.LBB2_23:
	s_or_b64 exec, exec, s[2:3]
	v_lshrrev_b64 v[0:1], 31, v[16:17]
	v_mov_b64_e32 v[50:51], 0
	v_and_b32_e32 v0, 3, v0
	s_waitcnt lgkmcnt(0)
	v_ashrrev_i32_e32 v39, 31, v38
	v_mov_b64_e32 v[56:57], v[50:51]
                                        ; implicit-def: $agpr10_agpr11
                                        ; implicit-def: $vgpr20
                                        ; implicit-def: $vgpr26_vgpr27
                                        ; implicit-def: $vgpr22_vgpr23
                                        ; implicit-def: $vgpr52_vgpr53
	s_and_saveexec_b64 s[0:1], vcc
	s_cbranch_execz .LBB2_33
; %bb.24:
	s_trap 2
	ds_read_b64 v[2:3], v0
	v_and_b32_e32 v1, 0xffff, v0
	s_movk_i32 s2, 0xa8
                                        ; implicit-def: $agpr10_agpr11
	s_waitcnt lgkmcnt(0)
	v_lshl_add_u64 v[2:3], v[38:39], 3, v[2:3]
	flat_load_dwordx2 v[2:3], v[2:3]
	s_waitcnt vmcnt(0) lgkmcnt(0)
	v_mad_u64_u32 v[2:3], s[2:3], v1, s2, v[2:3]
	flat_load_dword v1, v[2:3] offset:640
	s_mov_b64 s[2:3], 0x1f8
	v_lshl_add_u64 v[50:51], v[2:3], 0, s[2:3]
	s_waitcnt vmcnt(0) lgkmcnt(0)
	v_cmp_eq_u32_e32 vcc, 1, v1
	s_and_saveexec_b64 s[2:3], vcc
	s_cbranch_execz .LBB2_26
; %bb.25:
	flat_load_dwordx2 v[4:5], v[50:51] offset:144
	v_or_b32_e32 v60, 0x2000, v60
	s_waitcnt vmcnt(0) lgkmcnt(0)
	flat_load_dwordx2 v[2:3], v[4:5]
	s_trap 2
	v_accvgpr_write_b32 a11, v5
	v_accvgpr_write_b32 a10, v4
	s_waitcnt vmcnt(0) lgkmcnt(0)
	ds_write_b64 v0, v[2:3]
	flat_load_dwordx2 v[2:3], v[4:5] offset:8
	s_waitcnt vmcnt(0) lgkmcnt(0)
	ds_write_b64 v0, v[2:3]
	flat_load_dwordx2 v[2:3], v[4:5] offset:16
	s_waitcnt vmcnt(0) lgkmcnt(0)
	ds_write_b64 v0, v[2:3]
.LBB2_26:
	s_or_b64 exec, exec, s[2:3]
	flat_load_dwordx2 v[58:59], v[50:51] offset:104
	v_and_b32_e32 v1, 32, v60
	v_cmp_ne_u32_e32 vcc, 0, v1
                                        ; implicit-def: $vgpr52_vgpr53
	s_and_saveexec_b64 s[2:3], vcc
	s_cbranch_execz .LBB2_28
; %bb.27:
	flat_load_dwordx2 v[52:53], v[50:51] offset:56
	s_waitcnt vmcnt(0) lgkmcnt(0)
	flat_store_dwordx2 v[52:53], v[58:59] sc0 sc1
.LBB2_28:
	s_or_b64 exec, exec, s[2:3]
	v_and_b32_e32 v1, 4, v60
	v_cmp_ne_u32_e32 vcc, 0, v1
	v_mov_b64_e32 v[56:57], 0
                                        ; implicit-def: $vgpr20
                                        ; implicit-def: $vgpr26_vgpr27
                                        ; implicit-def: $vgpr22_vgpr23
	s_and_saveexec_b64 s[2:3], vcc
	s_cbranch_execz .LBB2_32
; %bb.29:
	v_and_b32_e32 v1, 0x800, v60
	v_cmp_eq_u32_e32 vcc, 0, v1
	s_and_saveexec_b64 s[4:5], vcc
	s_cbranch_execz .LBB2_31
; %bb.30:
	s_trap 2
	ds_write_b64 v0, v[50:51]
.LBB2_31:
	s_or_b64 exec, exec, s[4:5]
	flat_load_dwordx2 v[52:53], v[50:51] offset:48
	v_or_b32_e32 v1, 0x100, v60
	s_waitcnt vmcnt(0) lgkmcnt(0)
	flat_load_dwordx2 v[26:27], v[52:53] sc0 sc1
	flat_load_dwordx2 v[56:57], v[50:51] offset:96
	flat_load_dword v20, v[50:51] offset:72
	flat_load_dwordx2 v[22:23], v[50:51] offset:16
	s_waitcnt vmcnt(0) lgkmcnt(0)
	v_cmp_eq_u64_e32 vcc, 0, v[56:57]
	s_nop 1
	v_cndmask_b32_e32 v60, v1, v60, vcc
.LBB2_32:
	s_or_b64 exec, exec, s[2:3]
.LBB2_33:
	s_or_b64 exec, exec, s[0:1]
	v_and_b32_e32 v1, 24, v60
	v_cmp_ne_u32_e32 vcc, 0, v1
                                        ; implicit-def: $vgpr28_vgpr29
	s_and_saveexec_b64 s[0:1], vcc
	s_cbranch_execz .LBB2_41
; %bb.34:
	s_trap 2
	ds_read_b64 v[2:3], v0
	v_and_b32_e32 v0, 0xffff, v0
	s_movk_i32 s2, 0xa8
                                        ; implicit-def: $vgpr28_vgpr29
	s_waitcnt lgkmcnt(0)
	v_lshl_add_u64 v[2:3], v[38:39], 3, v[2:3]
	flat_load_dwordx2 v[2:3], v[2:3]
	s_waitcnt vmcnt(0) lgkmcnt(0)
	v_mad_u64_u32 v[50:51], s[2:3], v0, s2, v[2:3]
	flat_load_dwordx4 v[56:59], v[50:51] offset:96
	v_or_b32_e32 v0, 0x100, v60
	s_waitcnt vmcnt(0) lgkmcnt(0)
	v_cmp_eq_u64_e32 vcc, 0, v[56:57]
	s_nop 1
	v_cndmask_b32_e32 v60, v0, v60, vcc
	v_and_b32_e32 v0, 16, v60
	v_cmp_ne_u32_e32 vcc, 0, v0
	s_and_saveexec_b64 s[2:3], vcc
	s_cbranch_execz .LBB2_36
; %bb.35:
	flat_load_dwordx2 v[28:29], v[50:51] offset:120
	flat_load_dwordx2 v[52:53], v[50:51] offset:48
	;; [unrolled: 1-line block ×3, first 2 shown]
.LBB2_36:
	s_or_b64 exec, exec, s[2:3]
	v_and_b32_e32 v0, 8, v60
	v_cmp_ne_u32_e32 vcc, 0, v0
	s_and_saveexec_b64 s[2:3], vcc
	s_cbranch_execz .LBB2_40
; %bb.37:
	v_and_b32_e32 v0, 0x800, v60
	v_cmp_eq_u32_e32 vcc, 0, v0
	s_and_saveexec_b64 s[4:5], vcc
	s_cbranch_execz .LBB2_39
; %bb.38:
	s_trap 2
	ds_write_b64 v0, v[50:51]
.LBB2_39:
	s_or_b64 exec, exec, s[4:5]
	s_waitcnt vmcnt(0) lgkmcnt(0)
	flat_load_dwordx2 v[52:53], v[50:51] offset:56
	s_waitcnt vmcnt(0) lgkmcnt(0)
	flat_load_dwordx2 v[26:27], v[52:53] sc0 sc1
	flat_load_dword v20, v[50:51] offset:72
	flat_load_dwordx2 v[22:23], v[50:51] offset:16
.LBB2_40:
	s_or_b64 exec, exec, s[2:3]
.LBB2_41:
	s_or_b64 exec, exec, s[0:1]
	v_cmp_eq_u32_e64 s[0:1], 0, v47
	s_and_saveexec_b64 s[2:3], s[0:1]
	s_cbranch_execz .LBB2_43
; %bb.42:
	s_waitcnt vmcnt(0)
	v_mov_b32_e32 v0, v12
	v_mov_b32_e32 v1, v13
	;; [unrolled: 1-line block ×4, first 2 shown]
	ds_write2_b64 v0, v[0:1], v[2:3] offset1:1
	v_mov_b32_e32 v0, 0
	v_mov_b32_e32 v1, v0
	s_trap 2
	ds_write_b64 v0, v[0:1]
	ds_write_b64 v0, v[34:35]
.LBB2_43:
	s_or_b64 exec, exec, s[2:3]
	v_and_b32_e32 v38, 0x3ffffe00, v32
	v_mov_b32_e32 v39, 0
	v_bfe_u32 v0, v16, 1, 30
	s_waitcnt vmcnt(0)
	v_cmp_ne_u32_e32 vcc, v24, v0
                                        ; implicit-def: $vgpr34_vgpr35
	s_mov_b64 s[2:3], exec
	s_and_b64 s[4:5], s[2:3], vcc
	v_accvgpr_write_b32 a12, v50
	s_xor_b64 s[20:21], s[4:5], s[2:3]
	v_accvgpr_write_b32 a13, v51
	s_mov_b64 exec, s[4:5]
	s_cbranch_execz .LBB2_387
; %bb.44:
	v_cmp_ne_u32_e32 vcc, v14, v0
	v_cmp_ne_u64_e64 s[2:3], 0, v[36:37]
                                        ; implicit-def: $vgpr34_vgpr35
	s_and_saveexec_b64 s[4:5], vcc
	s_xor_b64 s[22:23], exec, s[4:5]
	s_cbranch_execz .LBB2_219
; %bb.45:
	v_mov_b64_e32 v[34:35], 0
	s_and_saveexec_b64 s[24:25], s[2:3]
	s_cbranch_execz .LBB2_218
; %bb.46:
	v_accvgpr_read_b32 v0, a2
	v_cmp_ne_u32_sdwa s[26:27], v0, v61 src0_sel:WORD_0 src1_sel:DWORD
	v_accvgpr_read_b32 v0, a1
	v_and_b32_e32 v0, 63, v0
	v_cmp_eq_u32_e64 s[10:11], 0, v0
	v_ashrrev_i32_e32 v0, 31, v47
	v_lshrrev_b32_e32 v0, 26, v0
	v_add_u32_e32 v0, v47, v0
	v_and_b32_e32 v1, 0xffffffc0, v0
	v_ashrrev_i32_e32 v0, 6, v0
	v_sub_u32_e32 v0, 0, v0
	v_sub_u32_e32 v1, v47, v1
	v_accvgpr_write_b32 a35, v0
	v_lshlrev_b32_e32 v0, 4, v47
	v_lshrrev_b32_e32 v44, 6, v61
	v_cmp_le_i32_e64 s[12:13], v1, v15
	v_accvgpr_write_b32 a34, v1
	v_cmp_lt_i32_e64 s[14:15], v1, v15
	v_ashrrev_i32_e32 v1, 31, v0
	v_accvgpr_write_b32 a37, v1
	v_lshlrev_b32_e32 v62, 10, v44
	v_accvgpr_write_b32 a36, v0
	v_add_u32_e32 v0, 0xfffffc00, v62
	v_ashrrev_i32_e32 v1, 31, v0
	s_mov_b64 s[16:17], 0x400
	v_lshl_add_u64 v[0:1], v[0:1], 0, s[16:17]
	s_trap 2
	scratch_store_dwordx2 off, v[0:1], s33 offset:156 ; 8-byte Folded Spill
	v_mov_b32_e32 v0, 0xfffffe00
	v_lshl_add_u32 v0, v44, 9, v0
	s_ashr_i32 s4, s60, 31
	v_ashrrev_i32_e32 v1, 31, v0
	s_mov_b64 s[16:17], 0x200
	v_and_b32_e32 v24, 0xffffffc0, v61
	s_lshr_b32 s4, s4, 24
	v_lshl_add_u64 v[14:15], v[0:1], 0, s[16:17]
	v_ashrrev_i32_e32 v25, 31, v24
	s_add_i32 s4, s60, s4
	s_waitcnt lgkmcnt(0)
	v_ashrrev_i32_e32 v17, 31, v20
	v_cmp_eq_u32_e32 vcc, 64, v61
	v_mov_b32_e32 v19, 0
	v_mov_b64_e32 v[32:33], 0
	v_accvgpr_write_b32 a6, v36
	v_accvgpr_write_b32 a8, v48
	;; [unrolled: 1-line block ×8, first 2 shown]
	s_ashr_i32 s61, s4, 8
	v_cmp_ge_i32_e64 s[4:5], v47, v61
	v_cmp_ne_u32_e64 s[6:7], 64, v61
	v_mov_b32_e32 v45, v19
	s_mov_b64 s[28:29], 0
	v_cmp_eq_u64_e64 s[16:17], 0, v[28:29]
	s_movk_i32 s62, 0x270e
	s_movk_i32 s63, 0x108
	v_mov_b32_e32 v21, 1
	s_xor_b64 s[30:31], vcc, -1
	s_mov_b32 s64, 0x7f800000
	s_mov_b32 s65, 0x47600000
	s_mov_b32 s66, 0xc0c0500
	s_mov_b32 s67, 0x3ffffc00
	s_mov_b64 s[34:35], 0x1c0
	s_movk_i32 s68, 0xfe40
	s_movk_i32 s69, 0xfe80
	;; [unrolled: 1-line block ×3, first 2 shown]
	v_mov_b32_e32 v43, 0xc7600000
	v_mov_b64_e32 v[34:35], v[32:33]
	v_accvgpr_write_b32 a7, v37
	v_accvgpr_write_b32 a9, v49
	;; [unrolled: 1-line block ×10, first 2 shown]
	s_branch .LBB2_49
.LBB2_47:                               ;   in Loop: Header=BB2_49 Depth=1
	s_or_b64 exec, exec, s[18:19]
.LBB2_48:                               ;   in Loop: Header=BB2_49 Depth=1
	s_or_b64 exec, exec, s[38:39]
	v_lshl_add_u64 v[32:33], v[32:33], 0, v[38:39]
	v_cmp_ge_u64_e32 vcc, v[32:33], v[36:37]
	s_or_b64 s[28:29], vcc, s[28:29]
	s_andn2_b64 exec, exec, s[28:29]
	s_cbranch_execz .LBB2_217
.LBB2_49:                               ; =>This Loop Header: Depth=1
                                        ;     Child Loop BB2_58 Depth 2
                                        ;     Child Loop BB2_84 Depth 2
	;; [unrolled: 1-line block ×10, first 2 shown]
	v_sub_co_u32_e32 v0, vcc, v36, v32
	s_nop 1
	v_subb_co_u32_e32 v1, vcc, v37, v33, vcc
	v_cmp_lt_u64_e32 vcc, v[38:39], v[0:1]
	s_nop 1
	v_cndmask_b32_e64 v55, v1, 0, vcc
	v_cndmask_b32_e32 v54, v0, v38, vcc
	v_add_u32_e32 v0, 15, v54
	v_cmp_eq_u64_e32 vcc, 0, v[54:55]
	v_and_b32_e32 v0, 0x7ffffff0, v0
	s_or_b64 s[36:37], s[4:5], vcc
	v_max_i32_e32 v40, s61, v0
	s_xor_b64 s[18:19], s[36:37], -1
	v_mov_b32_e32 v0, 0
	s_and_saveexec_b64 s[38:39], s[18:19]
	s_cbranch_execz .LBB2_167
; %bb.50:                               ;   in Loop: Header=BB2_49 Depth=1
	s_and_saveexec_b64 s[18:19], s[0:1]
	s_cbranch_execz .LBB2_52
; %bb.51:                               ;   in Loop: Header=BB2_49 Depth=1
	s_trap 2
	ds_read_b64 v[0:1], v0
	v_mov_b32_e32 v18, v19
	s_waitcnt lgkmcnt(0)
	v_lshl_add_u64 v[0:1], v[0:1], 0, v[48:49]
	v_lshl_add_u64 v[0:1], v[0:1], 0, v[32:33]
	ds_write_b64 v0, v[0:1]
	ds_write_b64 v0, v[18:19]
.LBB2_52:                               ;   in Loop: Header=BB2_49 Depth=1
	s_or_b64 exec, exec, s[18:19]
	v_and_b32_e32 v0, 12, v60
	v_cmp_ne_u32_e32 vcc, 0, v0
	s_mov_b64 s[40:41], -1
	v_lshl_add_u64 v[10:11], v[58:59], 0, 1
	s_and_saveexec_b64 s[18:19], vcc
	s_cbranch_execz .LBB2_64
; %bb.53:                               ;   in Loop: Header=BB2_49 Depth=1
	v_and_b32_e32 v18, 8, v60
	v_lshl_add_u64 v[0:1], v[26:27], 0, v[18:19]
	v_lshl_add_u64 v[12:13], v[58:59], 0, 1
	v_cmp_lt_u64_e32 vcc, v[0:1], v[12:13]
	v_mov_b32_e32 v0, 1
	s_and_saveexec_b64 s[40:41], vcc
	s_cbranch_execz .LBB2_63
; %bb.54:                               ;   in Loop: Header=BB2_49 Depth=1
	s_mov_b64 s[42:43], 0
	v_mov_b32_e32 v0, 0
                                        ; implicit-def: $sgpr46_sgpr47
	s_branch .LBB2_58
.LBB2_55:                               ;   in Loop: Header=BB2_58 Depth=2
	s_or_b64 exec, exec, s[54:55]
	v_mov_b32_e32 v1, 0
	s_orn2_b64 s[52:53], s[52:53], exec
.LBB2_56:                               ;   in Loop: Header=BB2_58 Depth=2
	s_or_b64 exec, exec, s[50:51]
	s_andn2_b64 vcc, s[46:47], exec
	s_and_b64 s[46:47], s[52:53], exec
	s_or_b64 s[46:47], vcc, s[46:47]
	v_mov_b32_e32 v0, v1
.LBB2_57:                               ;   in Loop: Header=BB2_58 Depth=2
	s_or_b64 exec, exec, s[48:49]
	s_waitcnt vmcnt(0) lgkmcnt(0)
	v_lshl_add_u64 v[2:3], v[26:27], 0, v[18:19]
	v_cmp_ge_u64_e32 vcc, v[2:3], v[12:13]
	s_xor_b64 s[48:49], s[46:47], -1
	s_or_b64 vcc, s[48:49], vcc
	s_and_b64 vcc, exec, vcc
	s_or_b64 s[42:43], vcc, s[42:43]
	s_andn2_b64 exec, exec, s[42:43]
	s_cbranch_execz .LBB2_62
.LBB2_58:                               ;   Parent Loop BB2_49 Depth=1
                                        ; =>  This Inner Loop Header: Depth=2
	s_sleep 1
	flat_load_dwordx2 v[26:27], v[52:53] sc0 sc1
	v_and_b32_e32 v1, 64, v60
	v_cmp_eq_u32_e32 vcc, 0, v1
	s_andn2_b64 s[46:47], s[46:47], exec
	s_and_saveexec_b64 s[48:49], vcc
	s_cbranch_execz .LBB2_57
; %bb.59:                               ;   in Loop: Header=BB2_58 Depth=2
	v_add_u32_e32 v1, 1, v0
	v_cmp_lt_i32_e32 vcc, s62, v0
	s_mov_b64 s[52:53], -1
	s_and_saveexec_b64 s[50:51], vcc
	s_cbranch_execz .LBB2_56
; %bb.60:                               ;   in Loop: Header=BB2_58 Depth=2
	s_trap 2
	ds_read_b64 v[0:1], v0
	s_waitcnt vmcnt(0) lgkmcnt(0)
	flat_load_dword v0, v[0:1] sc0 sc1
	s_waitcnt vmcnt(0) lgkmcnt(0)
	buffer_inv sc0 sc1
	v_cmp_ne_u32_e32 vcc, 0, v0
	s_and_saveexec_b64 s[54:55], vcc
	s_cbranch_execz .LBB2_55
; %bb.61:                               ;   in Loop: Header=BB2_58 Depth=2
	v_or_b32_e32 v60, 64, v60
	s_xor_b64 s[52:53], exec, -1
	ds_write_b32 v0, v0
	s_trap 2
	s_branch .LBB2_55
.LBB2_62:                               ;   in Loop: Header=BB2_49 Depth=1
	s_or_b64 exec, exec, s[42:43]
	v_and_b32_e32 v0, 12, v60
.LBB2_63:                               ;   in Loop: Header=BB2_49 Depth=1
	s_or_b64 exec, exec, s[40:41]
	v_cmp_eq_u32_e32 vcc, 0, v0
	s_orn2_b64 s[40:41], vcc, exec
	;;#ASMSTART
	s_wakeup
	;;#ASMEND
.LBB2_64:                               ;   in Loop: Header=BB2_49 Depth=1
	s_or_b64 exec, exec, s[18:19]
	s_xor_b64 s[18:19], s[40:41], -1
	v_min_u32_e32 v40, v40, v54
	s_and_saveexec_b64 s[40:41], s[18:19]
	s_cbranch_execz .LBB2_76
; %bb.65:                               ;   in Loop: Header=BB2_49 Depth=1
	v_and_b32_e32 v0, 0x108, v60
	v_cmp_ne_u32_e32 vcc, s63, v0
	v_and_b32_e32 v2, 7, v58
	s_and_saveexec_b64 s[18:19], vcc
	s_xor_b64 s[18:19], exec, s[18:19]
	s_andn2_saveexec_b64 s[18:19], s[18:19]
	s_cbranch_execz .LBB2_67
; %bb.66:                               ;   in Loop: Header=BB2_49 Depth=1
	v_mad_u64_u32 v[0:1], vcc, v2, 24, v[56:57]
	v_mov_b32_e32 v41, v19
	flat_store_dwordx2 v[0:1], v[40:41] offset:8
.LBB2_67:                               ;   in Loop: Header=BB2_49 Depth=1
	s_or_b64 exec, exec, s[18:19]
	v_and_b32_e32 v0, 0x100, v60
	v_cmp_ne_u32_e32 vcc, 0, v0
	s_mov_b64 s[18:19], -1
                                        ; implicit-def: $vgpr8_vgpr9
	s_and_saveexec_b64 s[42:43], vcc
	s_cbranch_execz .LBB2_71
; %bb.68:                               ;   in Loop: Header=BB2_49 Depth=1
	v_mad_u64_u32 v[12:13], s[18:19], v2, 24, v[56:57]
	v_mov_b32_e32 v0, v13
	v_mad_u64_u32 v[0:1], s[18:19], v19, 24, v[0:1]
	v_mov_b32_e32 v13, v0
	flat_load_dword v0, v[12:13]
                                        ; implicit-def: $vgpr8_vgpr9
	s_waitcnt vmcnt(0) lgkmcnt(0)
	v_cmp_ne_u32_e32 vcc, 1, v0
	v_cmp_eq_u32_e64 s[18:19], 1, v0
	s_and_saveexec_b64 s[46:47], s[18:19]
	s_cbranch_execz .LBB2_70
; %bb.69:                               ;   in Loop: Header=BB2_49 Depth=1
	flat_load_dword v8, v[12:13] offset:4 sc0 sc1
	s_waitcnt vmcnt(0) lgkmcnt(0)
	v_ashrrev_i32_e32 v9, 31, v8
.LBB2_70:                               ;   in Loop: Header=BB2_49 Depth=1
	s_or_b64 exec, exec, s[46:47]
	s_orn2_b64 s[18:19], vcc, exec
.LBB2_71:                               ;   in Loop: Header=BB2_49 Depth=1
	s_or_b64 exec, exec, s[42:43]
	s_and_saveexec_b64 vcc, s[18:19]
; %bb.72:                               ;   in Loop: Header=BB2_49 Depth=1
	v_mul_lo_u32 v0, v19, v20
	v_mul_lo_u32 v1, v2, v17
	v_mad_u64_u32 v[8:9], s[18:19], v2, v20, 0
	v_add3_u32 v9, v9, v1, v0
; %bb.73:                               ;   in Loop: Header=BB2_49 Depth=1
	s_or_b64 exec, exec, vcc
	v_lshl_add_u64 v[0:1], v[22:23], 0, v[8:9]
	s_trap 2
	ds_write_b64 v0, v[0:1]
	v_and_b32_e32 v0, 0x2000, v60
	v_cmp_ne_u32_e32 vcc, 0, v0
	s_and_saveexec_b64 s[18:19], vcc
	s_cbranch_execz .LBB2_75
; %bb.74:                               ;   in Loop: Header=BB2_49 Depth=1
	ds_read_b64 v[0:1], v0 offset:584
	s_waitcnt lgkmcnt(0)
	v_lshl_add_u64 v[0:1], v[0:1], 0, 1
	ds_write_b64 v0, v[0:1] offset:584
.LBB2_75:                               ;   in Loop: Header=BB2_49 Depth=1
	s_or_b64 exec, exec, s[18:19]
	v_mov_b64_e32 v[58:59], v[10:11]
.LBB2_76:                               ;   in Loop: Header=BB2_49 Depth=1
	s_or_b64 exec, exec, s[40:41]
	s_and_saveexec_b64 s[18:19], s[6:7]
	s_cbranch_execz .LBB2_95
; %bb.77:                               ;   in Loop: Header=BB2_49 Depth=1
	s_and_saveexec_b64 vcc, s[26:27]
	s_xor_b64 s[40:41], exec, vcc
	s_cbranch_execz .LBB2_92
; %bb.78:                               ;   in Loop: Header=BB2_49 Depth=1
	s_and_saveexec_b64 s[42:43], s[10:11]
	s_cbranch_execz .LBB2_91
; %bb.79:                               ;   in Loop: Header=BB2_49 Depth=1
	s_mov_b64 s[48:49], exec
	v_mbcnt_lo_u32_b32 v0, s48, 0
	v_mbcnt_hi_u32_b32 v0, s49, v0
	v_cmp_eq_u32_e32 vcc, 0, v0
	s_waitcnt lgkmcnt(0)
	s_and_saveexec_b64 s[46:47], vcc
	s_cbranch_execz .LBB2_81
; %bb.80:                               ;   in Loop: Header=BB2_49 Depth=1
	s_bcnt1_i32_b64 vcc_lo, s[48:49]
	v_mov_b32_e32 v18, vcc_lo
	ds_add_u64 v0, v[18:19]
	s_trap 2
.LBB2_81:                               ;   in Loop: Header=BB2_49 Depth=1
	s_or_b64 exec, exec, s[46:47]
	s_trap 2
	ds_read_b64 v[0:1], v0
	v_lshl_add_u64 v[34:35], v[34:35], 0, v[44:45]
	s_waitcnt lgkmcnt(0)
	v_cmp_lt_u64_e32 vcc, v[0:1], v[34:35]
	s_and_saveexec_b64 s[46:47], vcc
	s_cbranch_execz .LBB2_90
; %bb.82:                               ;   in Loop: Header=BB2_49 Depth=1
	s_mov_b32 s58, 0
	s_mov_b64 s[48:49], 0
                                        ; implicit-def: $sgpr50_sgpr51
                                        ; implicit-def: $sgpr52_sgpr53
	s_branch .LBB2_84
.LBB2_83:                               ;   in Loop: Header=BB2_84 Depth=2
	s_or_b64 exec, exec, s[56:57]
	s_and_b64 vcc, exec, vcc
	s_or_b64 s[48:49], vcc, s[48:49]
	s_andn2_b64 vcc, s[50:51], exec
	s_and_b64 s[50:51], s[52:53], exec
	s_or_b64 s[50:51], vcc, s[50:51]
	s_andn2_b64 exec, exec, s[48:49]
	s_cbranch_execz .LBB2_88
.LBB2_84:                               ;   Parent Loop BB2_49 Depth=1
                                        ; =>  This Inner Loop Header: Depth=2
	s_add_i32 s58, s58, 1
	s_cmpk_lg_i32 s58, 0x2710
	s_cselect_b64 s[54:55], -1, 0
	s_and_b64 vcc, exec, s[54:55]
                                        ; implicit-def: $sgpr56_sgpr57
	s_cbranch_vccnz .LBB2_86
; %bb.85:                               ;   in Loop: Header=BB2_84 Depth=2
	s_trap 2
	ds_read_b64 v[0:1], v0
	s_andn2_b64 s[54:55], s[54:55], exec
	s_mov_b32 s58, 0
	s_mov_b64 s[56:57], -1
	s_waitcnt vmcnt(0) lgkmcnt(0)
	flat_load_dword v0, v[0:1] sc0 sc1
	s_waitcnt vmcnt(0) lgkmcnt(0)
	buffer_inv sc0 sc1
	v_cmp_eq_u32_e32 vcc, 0, v0
	s_and_b64 vcc, vcc, exec
	s_or_b64 s[54:55], s[54:55], vcc
.LBB2_86:                               ;   in Loop: Header=BB2_84 Depth=2
	s_andn2_b64 s[52:53], s[52:53], exec
	s_and_b64 s[56:57], s[56:57], exec
	s_mov_b64 vcc, -1
	s_or_b64 s[52:53], s[52:53], s[56:57]
	s_and_saveexec_b64 s[56:57], s[54:55]
	s_cbranch_execz .LBB2_83
; %bb.87:                               ;   in Loop: Header=BB2_84 Depth=2
	s_sleep 1
	s_trap 2
	ds_read_b64 v[0:1], v0
	s_andn2_b64 s[52:53], s[52:53], exec
	s_waitcnt lgkmcnt(0)
	v_cmp_ge_u64_e32 vcc, v[0:1], v[34:35]
	s_orn2_b64 vcc, vcc, exec
	s_branch .LBB2_83
.LBB2_88:                               ;   in Loop: Header=BB2_49 Depth=1
	s_or_b64 exec, exec, s[48:49]
	s_and_saveexec_b64 vcc, s[50:51]
	s_xor_b64 vcc, exec, vcc
	s_cbranch_execz .LBB2_90
; %bb.89:                               ;   in Loop: Header=BB2_49 Depth=1
	ds_write_b32 v0, v21
	s_trap 2
.LBB2_90:                               ;   in Loop: Header=BB2_49 Depth=1
	s_or_b64 exec, exec, s[46:47]
	;;#ASMSTART
	s_wakeup
	;;#ASMEND
.LBB2_91:                               ;   in Loop: Header=BB2_49 Depth=1
	s_or_b64 exec, exec, s[42:43]
.LBB2_92:                               ;   in Loop: Header=BB2_49 Depth=1
	s_andn2_saveexec_b64 vcc, s[40:41]
	s_cbranch_execz .LBB2_94
; %bb.93:                               ;   in Loop: Header=BB2_49 Depth=1
	s_waitcnt lgkmcnt(0)
	s_barrier
.LBB2_94:                               ;   in Loop: Header=BB2_49 Depth=1
	s_or_b64 exec, exec, vcc
.LBB2_95:                               ;   in Loop: Header=BB2_49 Depth=1
	s_or_b64 exec, exec, s[18:19]
	s_trap 2
	ds_read_b32 v0, v0
	v_and_b32_e32 v1, 0x4000, v60
	v_cmp_ne_u32_e32 vcc, 0, v1
	s_and_b64 vcc, s[30:31], vcc
	s_and_saveexec_b64 s[18:19], vcc
	s_cbranch_execz .LBB2_114
; %bb.96:                               ;   in Loop: Header=BB2_49 Depth=1
	s_and_saveexec_b64 vcc, s[26:27]
	s_xor_b64 s[40:41], exec, vcc
	s_cbranch_execz .LBB2_111
; %bb.97:                               ;   in Loop: Header=BB2_49 Depth=1
	s_and_saveexec_b64 s[42:43], s[10:11]
	s_cbranch_execz .LBB2_110
; %bb.98:                               ;   in Loop: Header=BB2_49 Depth=1
	s_mov_b64 s[48:49], exec
	v_mbcnt_lo_u32_b32 v1, s48, 0
	v_mbcnt_hi_u32_b32 v1, s49, v1
	v_cmp_eq_u32_e32 vcc, 0, v1
	s_waitcnt lgkmcnt(0)
	s_and_saveexec_b64 s[46:47], vcc
	s_cbranch_execz .LBB2_100
; %bb.99:                               ;   in Loop: Header=BB2_49 Depth=1
	s_bcnt1_i32_b64 vcc_lo, s[48:49]
	v_mov_b32_e32 v18, vcc_lo
	ds_add_u64 v0, v[18:19]
	s_trap 2
.LBB2_100:                              ;   in Loop: Header=BB2_49 Depth=1
	s_or_b64 exec, exec, s[46:47]
	s_trap 2
	ds_read_b64 v[2:3], v0
	v_lshl_add_u64 v[34:35], v[34:35], 0, v[44:45]
	s_waitcnt lgkmcnt(0)
	v_cmp_lt_u64_e32 vcc, v[2:3], v[34:35]
	s_and_saveexec_b64 s[46:47], vcc
	s_cbranch_execz .LBB2_109
; %bb.101:                              ;   in Loop: Header=BB2_49 Depth=1
	s_mov_b32 s58, 0
	s_mov_b64 s[48:49], 0
                                        ; implicit-def: $sgpr50_sgpr51
                                        ; implicit-def: $sgpr52_sgpr53
	s_branch .LBB2_103
.LBB2_102:                              ;   in Loop: Header=BB2_103 Depth=2
	s_or_b64 exec, exec, s[56:57]
	s_and_b64 vcc, exec, vcc
	s_or_b64 s[48:49], vcc, s[48:49]
	s_andn2_b64 vcc, s[50:51], exec
	s_and_b64 s[50:51], s[52:53], exec
	s_or_b64 s[50:51], vcc, s[50:51]
	s_andn2_b64 exec, exec, s[48:49]
	s_cbranch_execz .LBB2_107
.LBB2_103:                              ;   Parent Loop BB2_49 Depth=1
                                        ; =>  This Inner Loop Header: Depth=2
	s_add_i32 s58, s58, 1
	s_cmpk_lg_i32 s58, 0x2710
	s_cselect_b64 s[54:55], -1, 0
	s_and_b64 vcc, exec, s[54:55]
                                        ; implicit-def: $sgpr56_sgpr57
	s_cbranch_vccnz .LBB2_105
; %bb.104:                              ;   in Loop: Header=BB2_103 Depth=2
	s_trap 2
	ds_read_b64 v[2:3], v0
	s_andn2_b64 s[54:55], s[54:55], exec
	s_mov_b32 s58, 0
	s_mov_b64 s[56:57], -1
	s_waitcnt vmcnt(0) lgkmcnt(0)
	flat_load_dword v1, v[2:3] sc0 sc1
	s_waitcnt vmcnt(0) lgkmcnt(0)
	buffer_inv sc0 sc1
	v_cmp_eq_u32_e32 vcc, 0, v1
	s_and_b64 vcc, vcc, exec
	s_or_b64 s[54:55], s[54:55], vcc
.LBB2_105:                              ;   in Loop: Header=BB2_103 Depth=2
	s_andn2_b64 s[52:53], s[52:53], exec
	s_and_b64 s[56:57], s[56:57], exec
	s_mov_b64 vcc, -1
	s_or_b64 s[52:53], s[52:53], s[56:57]
	s_and_saveexec_b64 s[56:57], s[54:55]
	s_cbranch_execz .LBB2_102
; %bb.106:                              ;   in Loop: Header=BB2_103 Depth=2
	s_sleep 1
	s_trap 2
	ds_read_b64 v[2:3], v0
	s_andn2_b64 s[52:53], s[52:53], exec
	s_waitcnt lgkmcnt(0)
	v_cmp_ge_u64_e32 vcc, v[2:3], v[34:35]
	s_orn2_b64 vcc, vcc, exec
	s_branch .LBB2_102
.LBB2_107:                              ;   in Loop: Header=BB2_49 Depth=1
	s_or_b64 exec, exec, s[48:49]
	s_and_saveexec_b64 vcc, s[50:51]
	s_xor_b64 vcc, exec, vcc
	s_cbranch_execz .LBB2_109
; %bb.108:                              ;   in Loop: Header=BB2_49 Depth=1
	ds_write_b32 v0, v21
	s_trap 2
.LBB2_109:                              ;   in Loop: Header=BB2_49 Depth=1
	s_or_b64 exec, exec, s[46:47]
	;;#ASMSTART
	s_wakeup
	;;#ASMEND
.LBB2_110:                              ;   in Loop: Header=BB2_49 Depth=1
	s_or_b64 exec, exec, s[42:43]
.LBB2_111:                              ;   in Loop: Header=BB2_49 Depth=1
	s_andn2_saveexec_b64 vcc, s[40:41]
	s_cbranch_execz .LBB2_113
; %bb.112:                              ;   in Loop: Header=BB2_49 Depth=1
	s_waitcnt lgkmcnt(0)
	s_barrier
.LBB2_113:                              ;   in Loop: Header=BB2_49 Depth=1
	s_or_b64 exec, exec, vcc
.LBB2_114:                              ;   in Loop: Header=BB2_49 Depth=1
	s_or_b64 exec, exec, s[18:19]
	s_trap 2
	s_waitcnt lgkmcnt(0)
	ds_read_b64 v[2:3], v0
	s_waitcnt lgkmcnt(0)
	v_readfirstlane_b32 s18, v2
	v_readfirstlane_b32 s19, v3
	s_cmp_eq_u64 s[18:19], 0
	s_cselect_b64 s[18:19], -1, 0
	s_or_b64 vcc, s[18:19], s[18:19]
	s_mov_b64 s[18:19], 0
	s_and_b64 vcc, exec, vcc
	s_cbranch_vccnz .LBB2_141
; %bb.115:                              ;   in Loop: Header=BB2_49 Depth=1
	s_mov_b64 s[18:19], -1
	s_and_saveexec_b64 s[40:41], s[12:13]
	s_cbranch_execz .LBB2_117
; %bb.116:                              ;   in Loop: Header=BB2_49 Depth=1
	ds_read_b32 v1, v0 offset:720
	s_waitcnt lgkmcnt(0)
	v_and_b32_e32 v1, 15, v1
	v_cmp_eq_u32_e32 vcc, 0, v1
	s_orn2_b64 s[18:19], vcc, exec
.LBB2_117:                              ;   in Loop: Header=BB2_49 Depth=1
	s_or_b64 exec, exec, s[40:41]
	s_and_saveexec_b64 s[40:41], s[14:15]
	s_cbranch_execz .LBB2_119
; %bb.118:                              ;   in Loop: Header=BB2_49 Depth=1
	ds_read_b32 v1, v0 offset:784
	s_waitcnt lgkmcnt(0)
	v_and_b32_e32 v1, 15, v1
	v_cmp_eq_u32_e32 vcc, 0, v1
	s_and_b64 vcc, s[18:19], vcc
	s_andn2_b64 s[18:19], s[18:19], exec
	s_and_b64 vcc, vcc, exec
	s_or_b64 s[18:19], s[18:19], vcc
.LBB2_119:                              ;   in Loop: Header=BB2_49 Depth=1
	s_or_b64 exec, exec, s[40:41]
	v_cmp_eq_u32_e32 vcc, 0, v0
	s_xor_b64 s[18:19], s[18:19], -1
	v_cndmask_b32_e64 v0, 0, 1, s[18:19]
	v_cndmask_b32_e32 v55, 0, v40, vcc
	v_mov_b32_e32 v10, 0
	s_mov_b64 s[42:43], -1
	;;#ASMSTART
	;;#ASMEND
	v_mov_b32_e32 v4, v55
	v_cmp_ne_u32_e32 vcc, 0, v0
	v_mov_b32_e32 v5, v47
	s_cbranch_vccz .LBB2_121
; %bb.120:                              ;   in Loop: Header=BB2_49 Depth=1
	v_mov_b64_e32 v[30:31], v[48:49]
	s_and_saveexec_b64 s[40:41], s[42:43]
	s_cbranch_execnz .LBB2_132
	s_branch .LBB2_140
.LBB2_121:                              ;   in Loop: Header=BB2_49 Depth=1
	v_accvgpr_read_b32 v0, a36
	v_accvgpr_read_b32 v1, a37
	v_and_b32_e32 v3, 0x3ff, v55
	v_lshrrev_b32_e32 v1, 10, v55
	v_cmp_lt_u32_e32 vcc, 15, v3
	v_accvgpr_read_b32 v2, a35
	v_sub_u32_e32 v0, v55, v0
	v_addc_co_u32_e64 v2, s[18:19], v1, v2, vcc
	v_cmp_lt_i32_e64 s[18:19], 15, v0
	s_and_saveexec_b64 s[40:41], s[18:19]
	s_cbranch_execz .LBB2_125
; %bb.122:                              ;   in Loop: Header=BB2_49 Depth=1
	s_trap 2
	ds_read_b128 v[4:7], v0
	ds_read_b64 v[8:9], v0
	v_accvgpr_read_b32 v10, a36
	v_accvgpr_write_b32 a32, v32
	v_accvgpr_write_b32 a24, v34
	;; [unrolled: 1-line block ×4, first 2 shown]
	v_accvgpr_read_b32 v11, a37
	v_accvgpr_write_b32 a47, v45
	v_accvgpr_write_b32 a27, v55
	;; [unrolled: 1-line block ×13, first 2 shown]
	s_waitcnt lgkmcnt(0)
	v_lshl_add_u64 v[56:57], v[4:5], 0, v[10:11]
	v_lshl_add_u64 v[58:59], v[6:7], 0, v[10:11]
	;; [unrolled: 1-line block ×3, first 2 shown]
	s_mov_b64 s[42:43], 0
	v_accvgpr_write_b32 a46, v44
.LBB2_123:                              ;   Parent Loop BB2_49 Depth=1
                                        ; =>  This Inner Loop Header: Depth=2
	s_trap 2
	global_load_dwordx4 v[10:13], v[56:57], off nt
	global_load_dwordx4 v[14:17], v[58:59], off nt
	ds_read_b32 v22, v0
	v_mov_b32_e32 v4, 0
	v_mov_b32_e32 v27, 0
	;; [unrolled: 1-line block ×4, first 2 shown]
	s_waitcnt lgkmcnt(0)
	v_and_b32_e32 v22, 0xff, v22
	v_cvt_f32_bf8_sdwa v22, v22 src0_sel:BYTE_0
	v_mov_b32_e32 v19, 0
	v_mov_b32_e32 v5, 0
	;; [unrolled: 1-line block ×20, first 2 shown]
	v_sub_u32_e32 v0, v0, v62
	s_waitcnt vmcnt(0)
	v_and_b32_e32 v23, 0xff, v10
	v_bfe_u32 v28, v10, 8, 8
	v_lshrrev_b32_e32 v29, 24, v10
	v_bfe_u32 v31, v10, 16, 8
	v_and_b32_e32 v37, 0xff, v11
	v_bfe_u32 v38, v11, 8, 8
	v_lshrrev_b32_e32 v39, 24, v11
	v_bfe_u32 v48, v11, 16, 8
	;; [unrolled: 4-line block ×4, first 2 shown]
	v_cvt_f32_bf8_sdwa v23, v23 src0_sel:BYTE_0
	v_cvt_f32_bf8_sdwa v28, v28 src0_sel:BYTE_0
	;; [unrolled: 1-line block ×16, first 2 shown]
	v_mul_f32_e32 v23, v22, v23
	v_mul_f32_e32 v28, v22, v28
	;; [unrolled: 1-line block ×16, first 2 shown]
	v_med3_f32 v55, v23, s65, v43
	v_cmp_nlg_f32_e64 s[18:19], |v23|, s64
	v_lshrrev_b32_e32 v10, 16, v14
	v_and_b32_e32 v12, 0xffff, v14
	v_cndmask_b32_e64 v23, v55, v23, s[18:19]
	v_med3_f32 v55, v28, s65, v43
	v_cmp_nlg_f32_e64 s[18:19], |v28|, s64
	v_cvt_pk_bf8_f32 v4, v23, v23
	v_lshrrev_b32_e32 v11, 16, v15
	v_cndmask_b32_e64 v28, v55, v28, s[18:19]
	v_med3_f32 v55, v31, s65, v43
	v_cmp_nlg_f32_e64 s[18:19], |v31|, s64
	v_cvt_pk_bf8_f32 v27, v28, v28
	v_and_b32_e32 v13, 0xffff, v15
	v_cndmask_b32_e64 v31, v55, v31, s[18:19]
	v_med3_f32 v55, v29, s65, v43
	v_cmp_nlg_f32_e64 s[18:19], |v29|, s64
	v_cvt_pk_bf8_f32 v19, v31, v31
	v_lshlrev_b32_e32 v27, 8, v27
	v_cndmask_b32_e64 v29, v55, v29, s[18:19]
	v_med3_f32 v55, v37, s65, v43
	v_cmp_nlg_f32_e64 s[18:19], |v37|, s64
	v_cvt_pk_bf8_f32 v30, v29, v29
	v_lshrrev_b32_e32 v14, 16, v16
	v_cndmask_b32_e64 v37, v55, v37, s[18:19]
	v_med3_f32 v55, v38, s65, v43
	v_cmp_nlg_f32_e64 s[18:19], |v38|, s64
	v_cvt_pk_bf8_f32 v5, v37, v37
	v_lshlrev_b32_e32 v30, 8, v30
	v_cndmask_b32_e64 v38, v55, v38, s[18:19]
	v_med3_f32 v55, v48, s65, v43
	v_cmp_nlg_f32_e64 s[18:19], |v48|, s64
	v_cvt_pk_bf8_f32 v32, v38, v38
	v_and_b32_e32 v15, 0xffff, v16
	v_cndmask_b32_e64 v48, v55, v48, s[18:19]
	v_med3_f32 v55, v39, s65, v43
	v_cmp_nlg_f32_e64 s[18:19], |v39|, s64
	v_cvt_pk_bf8_f32 v21, v48, v48
	v_lshlrev_b32_e32 v31, 8, v32
	v_cndmask_b32_e64 v55, v55, v39, s[18:19]
	v_med3_f32 v39, v49, s65, v43
	v_cmp_nlg_f32_e64 s[18:19], |v49|, s64
	v_cvt_pk_bf8_f32 v33, v55, v55
	v_perm_b32 v19, v30, v19, s66
	v_cndmask_b32_e64 v49, v39, v49, s[18:19]
	v_med3_f32 v39, v50, s65, v43
	v_cmp_nlg_f32_e64 s[18:19], |v50|, s64
	v_cvt_pk_bf8_f32 v20, v49, v49
	v_lshlrev_b32_e32 v32, 8, v33
	v_cndmask_b32_e64 v41, v39, v50, s[18:19]
	v_med3_f32 v39, v52, s65, v43
	v_cmp_nlg_f32_e64 s[18:19], |v52|, s64
	v_cvt_pk_bf8_f32 v34, v41, v41
	v_perm_b32 v4, v27, v4, s66
	;; [unrolled: 10-line block ×3, first 2 shown]
	v_cndmask_b32_e64 v53, v39, v53, s[18:19]
	v_med3_f32 v39, v54, s65, v43
	v_cmp_nlg_f32_e64 s[18:19], |v54|, s64
	v_cvt_pk_bf8_f32 v24, v53, v53
	v_lshlrev_b32_e32 v34, 8, v35
	v_cndmask_b32_e64 v54, v39, v54, s[18:19]
	v_med3_f32 v39, v40, s65, v43
	v_cmp_nlg_f32_e64 s[18:19], |v40|, s64
	v_cvt_pk_bf8_f32 v36, v54, v54
	v_lshrrev_b32_e32 v16, 16, v17
	v_cndmask_b32_e64 v40, v39, v40, s[18:19]
	v_med3_f32 v39, v22, s65, v43
	v_cmp_nlg_f32_e64 s[18:19], |v22|, s64
	v_cvt_pk_bf8_f32 v26, v40, v40
	v_lshlrev_b32_e32 v35, 8, v36
	v_cndmask_b32_e64 v43, v39, v22, s[18:19]
	scratch_load_dwordx2 v[22:23], off, s33 offset:156 ; 8-byte Folded Reload
	v_cvt_pk_bf8_f32 v6, v43, v43
	v_and_b32_e32 v17, 0xffff, v17
	v_cvt_pk_f32_bf8_e32 v[28:29], v10
	v_cvt_pk_f32_bf8_e32 v[10:11], v11
	v_cvt_pk_f32_bf8_e32 v[38:39], v15
	v_cvt_pk_f32_bf8_e32 v[14:15], v14
	v_lshlrev_b32_e32 v6, 8, v6
	v_perm_b32 v27, v32, v21, s66
	v_perm_b32 v31, v34, v25, s66
	;; [unrolled: 1-line block ×4, first 2 shown]
	v_cvt_pk_f32_bf8_e32 v[4:5], v4
	v_cvt_pk_f32_bf8_e32 v[20:21], v19
	v_cvt_pk_f32_bf8_e32 v[24:25], v30
	v_cvt_pk_f32_bf8_e32 v[50:51], v17
	v_cvt_pk_f32_bf8_e32 v[16:17], v16
	v_perm_b32 v6, v6, v26, s66
	v_cvt_pk_f32_bf8_e32 v[26:27], v27
	v_cvt_pk_f32_bf8_e32 v[32:33], v32
	;; [unrolled: 1-line block ×5, first 2 shown]
	v_cmp_gt_i32_e64 s[18:19], 16, v0
	s_or_b64 s[42:43], s[18:19], s[42:43]
	v_mov_b32_e32 v43, 0xc7600000
	s_waitcnt vmcnt(0)
	v_lshl_add_u64 v[56:57], v[56:57], 0, v[22:23]
	scratch_load_dwordx2 v[22:23], off, s33 offset:156 ; 8-byte Folded Reload
	s_waitcnt vmcnt(0)
	v_lshl_add_u64 v[58:59], v[58:59], 0, v[22:23]
	v_accvgpr_read_b32 v22, a46
	v_accvgpr_read_b32 v23, a47
	v_sub_u32_e32 v2, v2, v22
	v_cvt_pk_f32_bf8_e32 v[22:23], v12
	v_cvt_pk_f32_bf8_e32 v[12:13], v13
	;;#ASMSTART
	v_pk_add_f32 v[4:5], v[4:5], v[22:23]
	;;#ASMEND
	;;#ASMSTART
	v_pk_add_f32 v[20:21], v[20:21], v[28:29]
	;;#ASMEND
	;; [unrolled: 3-line block ×8, first 2 shown]
	s_nop 0
	v_cvt_pk_bf8_f32 v1, v4, v5
	v_cvt_pk_bf8_f32 v8, v12, v13
	v_cvt_pk_bf8_f32 v9, v22, v23
	v_cvt_pk_bf8_f32 v45, v24, v25
	v_cvt_pk_bf8_f32 v18, v20, v21
	v_cvt_pk_bf8_f32 v7, v10, v11
	v_cvt_pk_bf8_f32 v44, v14, v15
	v_cvt_pk_bf8_f32 v46, v16, v17
	v_and_b32_e32 v1, 0xffff, v1
	v_and_b32_e32 v5, 0xffff, v8
	;; [unrolled: 1-line block ×4, first 2 shown]
	v_lshl_or_b32 v4, v18, 16, v1
	v_lshl_or_b32 v5, v7, 16, v5
	;; [unrolled: 1-line block ×4, first 2 shown]
	global_store_dwordx4 v[60:61], v[4:7], off nt
	scratch_load_dwordx2 v[4:5], off, s33 offset:156 ; 8-byte Folded Reload
	s_waitcnt vmcnt(0)
	v_lshl_add_u64 v[60:61], v[60:61], 0, v[4:5]
	s_andn2_b64 exec, exec, s[42:43]
	s_cbranch_execnz .LBB2_123
; %bb.124:                              ;   in Loop: Header=BB2_49 Depth=1
	s_or_b64 exec, exec, s[42:43]
	v_accvgpr_read_b32 v37, a7
	v_accvgpr_read_b32 v49, a9
	;; [unrolled: 1-line block ×35, first 2 shown]
	v_mov_b32_e32 v21, 1
	v_accvgpr_read_b32 v54, a38
	v_accvgpr_read_b32 v40, a44
	;; [unrolled: 1-line block ×3, first 2 shown]
.LBB2_125:                              ;   in Loop: Header=BB2_49 Depth=1
	s_or_b64 exec, exec, s[40:41]
	v_and_b32_e32 v0, 15, v55
	v_cndmask_b32_e32 v4, v3, v0, vcc
	v_cmp_ne_u32_e64 s[18:19], 0, v4
	s_mov_b64 s[42:43], 0
	v_mov_b32_e32 v10, 0
                                        ; implicit-def: $vgpr5
	s_and_saveexec_b64 s[40:41], s[18:19]
	s_cbranch_execz .LBB2_131
; %bb.126:                              ;   in Loop: Header=BB2_49 Depth=1
	v_sub_u32_e32 v0, v3, v0
	v_cndmask_b32_e32 v0, 0, v0, vcc
	v_cmp_lt_i32_e32 vcc, 0, v2
	v_and_or_b32 v10, v55, s67, v0
	v_accvgpr_read_b32 v1, a34
	v_cndmask_b32_e32 v0, 0, v44, vcc
	v_sub_u32_e32 v0, v0, v2
	v_lshl_add_u32 v1, v0, 6, v1
	v_ashrrev_i32_e32 v0, 31, v1
	v_lshrrev_b32_e32 v0, 26, v0
	v_add_u32_e32 v2, v1, v0
	v_ashrrev_i32_e32 v3, 6, v2
	v_and_b32_e32 v2, 0xffffffc0, v2
	v_sub_u32_e32 v2, v1, v2
	v_lshlrev_b32_e32 v1, 4, v2
	v_lshl_add_u32 v1, v3, 10, v1
	v_sub_u32_e32 v0, 0, v3
	v_sub_u32_e32 v3, v4, v1
	v_cmp_lt_i32_e32 vcc, 15, v3
	s_and_saveexec_b64 s[18:19], vcc
	s_cbranch_execz .LBB2_130
; %bb.127:                              ;   in Loop: Header=BB2_49 Depth=1
	v_accvgpr_write_b32 a45, v4
	s_trap 2
	ds_read_b128 v[4:7], v0
	ds_read_b64 v[8:9], v0
	v_accvgpr_write_b32 a39, v10
	v_add_u32_e32 v10, v1, v10
	v_accvgpr_write_b32 a32, v32
	v_accvgpr_write_b32 a24, v34
	;; [unrolled: 1-line block ×4, first 2 shown]
	v_ashrrev_i32_e32 v11, 31, v10
	v_accvgpr_write_b32 a47, v45
	v_accvgpr_write_b32 a27, v55
	;; [unrolled: 1-line block ×13, first 2 shown]
	s_waitcnt lgkmcnt(0)
	v_lshl_add_u64 v[56:57], v[4:5], 0, v[10:11]
	v_lshl_add_u64 v[58:59], v[6:7], 0, v[10:11]
	v_lshl_add_u64 v[60:61], v[8:9], 0, v[10:11]
	v_accvgpr_write_b32 a46, v44
.LBB2_128:                              ;   Parent Loop BB2_49 Depth=1
                                        ; =>  This Inner Loop Header: Depth=2
	s_trap 2
	global_load_dwordx4 v[10:13], v[56:57], off nt
	global_load_dwordx4 v[14:17], v[58:59], off nt
	ds_read_b32 v22, v0
	v_mov_b32_e32 v4, 0
	v_mov_b32_e32 v27, 0
	;; [unrolled: 1-line block ×4, first 2 shown]
	s_waitcnt lgkmcnt(0)
	v_and_b32_e32 v22, 0xff, v22
	v_cvt_f32_bf8_sdwa v22, v22 src0_sel:BYTE_0
	v_mov_b32_e32 v19, 0
	v_mov_b32_e32 v5, 0
	;; [unrolled: 1-line block ×20, first 2 shown]
	v_sub_u32_e32 v3, v3, v62
	s_waitcnt vmcnt(0)
	v_and_b32_e32 v23, 0xff, v10
	v_bfe_u32 v28, v10, 8, 8
	v_lshrrev_b32_e32 v29, 24, v10
	v_bfe_u32 v31, v10, 16, 8
	v_and_b32_e32 v37, 0xff, v11
	v_bfe_u32 v38, v11, 8, 8
	v_lshrrev_b32_e32 v39, 24, v11
	v_bfe_u32 v48, v11, 16, 8
	v_and_b32_e32 v49, 0xff, v12
	v_bfe_u32 v50, v12, 8, 8
	v_lshrrev_b32_e32 v51, 24, v12
	v_bfe_u32 v52, v12, 16, 8
	v_and_b32_e32 v53, 0xff, v13
	v_bfe_u32 v54, v13, 8, 8
	v_lshrrev_b32_e32 v55, 24, v13
	v_bfe_u32 v40, v13, 16, 8
	v_cvt_f32_bf8_sdwa v23, v23 src0_sel:BYTE_0
	v_cvt_f32_bf8_sdwa v28, v28 src0_sel:BYTE_0
	;; [unrolled: 1-line block ×16, first 2 shown]
	v_mul_f32_e32 v23, v22, v23
	v_mul_f32_e32 v28, v22, v28
	v_mul_f32_e32 v31, v22, v31
	v_mul_f32_e32 v29, v22, v29
	v_mul_f32_e32 v37, v22, v37
	v_mul_f32_e32 v38, v22, v38
	v_mul_f32_e32 v48, v22, v48
	v_mul_f32_e32 v39, v22, v39
	v_mul_f32_e32 v49, v22, v49
	v_mul_f32_e32 v50, v22, v50
	v_mul_f32_e32 v52, v22, v52
	v_mul_f32_e32 v51, v22, v51
	v_mul_f32_e32 v53, v22, v53
	v_mul_f32_e32 v54, v22, v54
	v_mul_f32_e32 v40, v22, v40
	v_mul_f32_e32 v22, v22, v55
	v_med3_f32 v55, v23, s65, v43
	v_cmp_nlg_f32_e64 vcc, |v23|, s64
	v_lshrrev_b32_e32 v10, 16, v14
	v_and_b32_e32 v12, 0xffff, v14
	v_cndmask_b32_e32 v23, v55, v23, vcc
	v_med3_f32 v55, v28, s65, v43
	v_cmp_nlg_f32_e64 vcc, |v28|, s64
	v_cvt_pk_bf8_f32 v4, v23, v23
	v_lshrrev_b32_e32 v11, 16, v15
	v_cndmask_b32_e32 v28, v55, v28, vcc
	v_med3_f32 v55, v31, s65, v43
	v_cmp_nlg_f32_e64 vcc, |v31|, s64
	v_cvt_pk_bf8_f32 v27, v28, v28
	v_and_b32_e32 v13, 0xffff, v15
	v_cndmask_b32_e32 v31, v55, v31, vcc
	v_med3_f32 v55, v29, s65, v43
	v_cmp_nlg_f32_e64 vcc, |v29|, s64
	v_cvt_pk_bf8_f32 v19, v31, v31
	v_lshlrev_b32_e32 v27, 8, v27
	v_cndmask_b32_e32 v29, v55, v29, vcc
	v_med3_f32 v55, v37, s65, v43
	v_cmp_nlg_f32_e64 vcc, |v37|, s64
	v_cvt_pk_bf8_f32 v30, v29, v29
	v_lshrrev_b32_e32 v14, 16, v16
	v_cndmask_b32_e32 v37, v55, v37, vcc
	v_med3_f32 v55, v38, s65, v43
	v_cmp_nlg_f32_e64 vcc, |v38|, s64
	v_cvt_pk_bf8_f32 v5, v37, v37
	v_lshlrev_b32_e32 v30, 8, v30
	v_cndmask_b32_e32 v38, v55, v38, vcc
	v_med3_f32 v55, v48, s65, v43
	v_cmp_nlg_f32_e64 vcc, |v48|, s64
	v_cvt_pk_bf8_f32 v32, v38, v38
	v_and_b32_e32 v15, 0xffff, v16
	v_cndmask_b32_e32 v48, v55, v48, vcc
	v_med3_f32 v55, v39, s65, v43
	v_cmp_nlg_f32_e64 vcc, |v39|, s64
	v_cvt_pk_bf8_f32 v21, v48, v48
	v_lshlrev_b32_e32 v31, 8, v32
	v_cndmask_b32_e32 v55, v55, v39, vcc
	v_med3_f32 v39, v49, s65, v43
	v_cmp_nlg_f32_e64 vcc, |v49|, s64
	v_cvt_pk_bf8_f32 v33, v55, v55
	v_perm_b32 v19, v30, v19, s66
	v_cndmask_b32_e32 v49, v39, v49, vcc
	v_med3_f32 v39, v50, s65, v43
	v_cmp_nlg_f32_e64 vcc, |v50|, s64
	v_cvt_pk_bf8_f32 v20, v49, v49
	v_lshlrev_b32_e32 v32, 8, v33
	v_cndmask_b32_e32 v41, v39, v50, vcc
	v_med3_f32 v39, v52, s65, v43
	v_cmp_nlg_f32_e64 vcc, |v52|, s64
	v_cvt_pk_bf8_f32 v34, v41, v41
	v_perm_b32 v4, v27, v4, s66
	;; [unrolled: 10-line block ×3, first 2 shown]
	v_cndmask_b32_e32 v53, v39, v53, vcc
	v_med3_f32 v39, v54, s65, v43
	v_cmp_nlg_f32_e64 vcc, |v54|, s64
	v_cvt_pk_bf8_f32 v24, v53, v53
	v_lshlrev_b32_e32 v34, 8, v35
	v_cndmask_b32_e32 v54, v39, v54, vcc
	v_med3_f32 v39, v40, s65, v43
	v_cmp_nlg_f32_e64 vcc, |v40|, s64
	v_cvt_pk_bf8_f32 v36, v54, v54
	v_lshrrev_b32_e32 v16, 16, v17
	v_cndmask_b32_e32 v40, v39, v40, vcc
	v_med3_f32 v39, v22, s65, v43
	v_cmp_nlg_f32_e64 vcc, |v22|, s64
	v_cvt_pk_bf8_f32 v26, v40, v40
	v_lshlrev_b32_e32 v35, 8, v36
	v_cndmask_b32_e32 v43, v39, v22, vcc
	scratch_load_dwordx2 v[22:23], off, s33 offset:156 ; 8-byte Folded Reload
	v_cvt_pk_bf8_f32 v6, v43, v43
	v_and_b32_e32 v17, 0xffff, v17
	v_cvt_pk_f32_bf8_e32 v[28:29], v10
	v_cvt_pk_f32_bf8_e32 v[10:11], v11
	;; [unrolled: 1-line block ×4, first 2 shown]
	v_lshlrev_b32_e32 v6, 8, v6
	v_perm_b32 v27, v32, v21, s66
	v_perm_b32 v31, v34, v25, s66
	;; [unrolled: 1-line block ×4, first 2 shown]
	v_cvt_pk_f32_bf8_e32 v[4:5], v4
	v_cvt_pk_f32_bf8_e32 v[20:21], v19
	v_cvt_pk_f32_bf8_e32 v[24:25], v30
	v_cvt_pk_f32_bf8_e32 v[50:51], v17
	v_cvt_pk_f32_bf8_e32 v[16:17], v16
	v_perm_b32 v6, v6, v26, s66
	v_cvt_pk_f32_bf8_e32 v[26:27], v27
	v_cvt_pk_f32_bf8_e32 v[32:33], v32
	;; [unrolled: 1-line block ×5, first 2 shown]
	v_cmp_gt_i32_e32 vcc, 16, v3
	s_or_b64 s[42:43], vcc, s[42:43]
	v_mov_b32_e32 v43, 0xc7600000
	s_waitcnt vmcnt(0)
	v_lshl_add_u64 v[56:57], v[56:57], 0, v[22:23]
	scratch_load_dwordx2 v[22:23], off, s33 offset:156 ; 8-byte Folded Reload
	s_waitcnt vmcnt(0)
	v_lshl_add_u64 v[58:59], v[58:59], 0, v[22:23]
	v_accvgpr_read_b32 v22, a46
	v_accvgpr_read_b32 v23, a47
	v_sub_u32_e32 v0, v0, v22
	v_cvt_pk_f32_bf8_e32 v[22:23], v12
	v_cvt_pk_f32_bf8_e32 v[12:13], v13
	;;#ASMSTART
	v_pk_add_f32 v[4:5], v[4:5], v[22:23]
	;;#ASMEND
	;;#ASMSTART
	v_pk_add_f32 v[20:21], v[20:21], v[28:29]
	;;#ASMEND
	;; [unrolled: 3-line block ×8, first 2 shown]
	s_nop 0
	v_cvt_pk_bf8_f32 v1, v4, v5
	v_cvt_pk_bf8_f32 v8, v12, v13
	;; [unrolled: 1-line block ×8, first 2 shown]
	v_and_b32_e32 v1, 0xffff, v1
	v_and_b32_e32 v5, 0xffff, v8
	;; [unrolled: 1-line block ×4, first 2 shown]
	v_lshl_or_b32 v4, v18, 16, v1
	v_lshl_or_b32 v5, v7, 16, v5
	;; [unrolled: 1-line block ×4, first 2 shown]
	global_store_dwordx4 v[60:61], v[4:7], off nt
	scratch_load_dwordx2 v[4:5], off, s33 offset:156 ; 8-byte Folded Reload
	s_waitcnt vmcnt(0)
	v_lshl_add_u64 v[60:61], v[60:61], 0, v[4:5]
	s_andn2_b64 exec, exec, s[42:43]
	s_cbranch_execnz .LBB2_128
; %bb.129:                              ;   in Loop: Header=BB2_49 Depth=1
	s_or_b64 exec, exec, s[42:43]
	v_accvgpr_read_b32 v37, a7
	v_accvgpr_read_b32 v49, a9
	;; [unrolled: 1-line block ×35, first 2 shown]
	v_mov_b32_e32 v21, 1
	v_accvgpr_read_b32 v54, a38
	v_accvgpr_read_b32 v40, a44
	;; [unrolled: 1-line block ×5, first 2 shown]
.LBB2_130:                              ;   in Loop: Header=BB2_49 Depth=1
	s_or_b64 exec, exec, s[18:19]
	v_cmp_lt_i32_e32 vcc, 0, v0
	s_mov_b64 s[42:43], exec
	s_nop 0
	v_cndmask_b32_e32 v1, 0, v44, vcc
	v_sub_u32_e32 v0, v1, v0
	v_lshl_add_u32 v5, v0, 6, v2
.LBB2_131:                              ;   in Loop: Header=BB2_49 Depth=1
	s_or_b64 exec, exec, s[40:41]
	v_mov_b64_e32 v[30:31], v[48:49]
	s_and_saveexec_b64 s[40:41], s[42:43]
	s_cbranch_execz .LBB2_140
.LBB2_132:                              ;   in Loop: Header=BB2_49 Depth=1
	v_ashrrev_i32_e32 v0, 31, v5
	v_lshrrev_b32_e32 v0, 26, v0
	v_add_u32_e32 v0, v5, v0
	v_ashrrev_i32_e32 v7, 6, v0
	v_lshrrev_b32_e32 v1, 9, v4
	v_sub_u32_e32 v49, v1, v7
	v_cmp_lt_i32_e32 vcc, 0, v49
	s_and_saveexec_b64 s[42:43], vcc
	s_cbranch_execz .LBB2_136
; %bb.133:                              ;   in Loop: Header=BB2_49 Depth=1
	v_and_b32_e32 v0, 0xffffffc0, v0
	s_trap 2
	v_sub_u32_e32 v6, v5, v0
	ds_read_b128 v[0:3], v0
	v_accvgpr_write_b32 a49, v4
	v_accvgpr_write_b32 a50, v5
	;; [unrolled: 1-line block ×3, first 2 shown]
	v_lshlrev_b32_e32 v7, 9, v7
	s_waitcnt lgkmcnt(0)
	ds_read_b64 v[4:5], v0
	v_add3_u32 v6, v10, v6, v7
	v_ashrrev_i32_e32 v7, 31, v6
	v_accvgpr_write_b32 a45, v33
	v_accvgpr_write_b32 a26, v34
	;; [unrolled: 1-line block ×5, first 2 shown]
	v_lshl_add_u64 v[10:11], v[0:1], 0, v[6:7]
	s_waitcnt lgkmcnt(0)
	v_lshl_add_u64 v[0:1], v[4:5], 0, s[34:35]
	v_accvgpr_write_b32 a53, v15
	v_accvgpr_write_b32 a39, v55
	;; [unrolled: 1-line block ×15, first 2 shown]
	v_lshl_add_u64 v[12:13], v[2:3], 0, v[6:7]
	v_accvgpr_write_b32 a52, v14
	v_lshl_add_u64 v[14:15], v[0:1], 0, v[6:7]
	s_mov_b64 s[46:47], 0
.LBB2_134:                              ;   Parent Loop BB2_49 Depth=1
                                        ; =>  This Inner Loop Header: Depth=2
	s_trap 2
	flat_load_ubyte v2, v[10:11] nt
	flat_load_ubyte v3, v[10:11] offset:64 nt
	flat_load_ubyte v51, v[12:13] nt
	flat_load_ubyte v50, v[12:13] offset:64 nt
	ds_read_b32 v43, v0
	flat_load_ubyte v53, v[10:11] offset:128 nt
	flat_load_ubyte v42, v[10:11] offset:192 nt
	;; [unrolled: 1-line block ×12, first 2 shown]
	v_add_co_u32_e32 v18, vcc, s68, v14
	s_waitcnt lgkmcnt(0)
	v_and_b32_e32 v22, 0xff, v43
	v_addc_co_u32_e32 v19, vcc, -1, v15, vcc
	v_cvt_f32_bf8_sdwa v62, v22 src0_sel:BYTE_0
	v_add_co_u32_e32 v56, vcc, s69, v14
	v_mov_b32_e32 v29, 0xc7600000
	s_nop 0
	v_addc_co_u32_e32 v57, vcc, -1, v15, vcc
	v_add_co_u32_e32 v58, vcc, s70, v14
	v_mov_b32_e32 v24, 0
	s_nop 0
	v_addc_co_u32_e32 v59, vcc, -1, v15, vcc
	v_mov_b32_e32 v25, 0
	v_mov_b32_e32 v55, 0
	v_mov_b32_e32 v6, 0
	v_mov_b32_e32 v33, 0
	v_mov_b32_e32 v36, 0
	v_mov_b32_e32 v21, 0
	v_mov_b32_e32 v20, 0
	v_mov_b32_e32 v1, 0
	v_mov_b32_e32 v40, 0
	v_mov_b32_e32 v47, 0
	v_mov_b32_e32 v5, 0
	v_mov_b32_e32 v34, 0
	v_mov_b32_e32 v54, 0
	v_mov_b32_e32 v7, 0
	v_mov_b32_e32 v52, 0
	v_accvgpr_write_b32 a32, v44
	v_sub_u32_e32 v49, v49, v44
	v_accvgpr_write_b32 a33, v45
	v_mov_b32_e32 v35, 0
	v_mov_b32_e32 v26, 0
	;; [unrolled: 1-line block ×4, first 2 shown]
	v_accvgpr_read_b32 v16, a52
	v_mov_b32_e32 v41, 0
	v_mov_b32_e32 v4, 0
	;; [unrolled: 1-line block ×4, first 2 shown]
	v_accvgpr_read_b32 v17, a53
	v_cmp_gt_i32_e64 s[18:19], 1, v49
	v_lshl_add_u64 v[10:11], v[10:11], 0, v[16:17]
	v_lshl_add_u64 v[12:13], v[12:13], 0, v[16:17]
	s_or_b64 s[46:47], s[18:19], s[46:47]
	s_waitcnt vmcnt(0)
	v_cvt_f32_bf8_sdwa v2, v2 src0_sel:BYTE_0
	v_cvt_f32_bf8_sdwa v3, v3 src0_sel:BYTE_0
	v_mul_f32_e32 v2, v62, v2
	v_mul_f32_e32 v3, v62, v3
	v_med3_f32 v22, v2, s65, v29
	v_cmp_nlg_f32_e64 vcc, |v2|, s64
	s_nop 1
	v_cndmask_b32_e32 v22, v22, v2, vcc
	v_med3_f32 v2, v3, s65, v29
	v_cmp_nlg_f32_e64 vcc, |v3|, s64
	v_cvt_pk_bf8_f32 v24, v22, v22
	v_cvt_pk_f32_bf8_e32 v[22:23], v50
	v_cndmask_b32_e32 v28, v2, v3, vcc
	v_cvt_pk_bf8_f32 v25, v28, v28
	v_cvt_pk_f32_bf8_e32 v[2:3], v51
	v_and_b32_e32 v24, 0xff, v24
	v_add_co_u32_e32 v60, vcc, 0xffffff00, v14
	v_and_b32_e32 v28, 0xff, v25
	v_cvt_pk_f32_bf8_e32 v[24:25], v24
	;;#ASMSTART
	v_pk_add_f32 v[50:51], v[24:25], v[2:3]
	;;#ASMEND
	v_cvt_pk_f32_bf8_e32 v[2:3], v28
	;;#ASMSTART
	v_pk_add_f32 v[24:25], v[2:3], v[22:23]
	;;#ASMEND
	v_cvt_f32_bf8_sdwa v2, v53 src0_sel:BYTE_0
	v_cvt_f32_bf8_sdwa v3, v42 src0_sel:BYTE_0
	v_addc_co_u32_e32 v61, vcc, -1, v15, vcc
	v_mul_f32_e32 v2, v62, v2
	v_mul_f32_e32 v3, v62, v3
	v_med3_f32 v22, v2, s65, v29
	v_cmp_nlg_f32_e64 vcc, |v2|, s64
	v_cvt_pk_f32_bf8_e32 v[42:43], v30
	v_cvt_pk_bf8_f32 v1, v50, v50
	v_cndmask_b32_e32 v22, v22, v2, vcc
	v_med3_f32 v2, v3, s65, v29
	v_cmp_nlg_f32_e64 vcc, |v3|, s64
	v_cvt_pk_bf8_f32 v55, v22, v22
	v_cvt_pk_bf8_f32 v40, v24, v24
	v_cndmask_b32_e32 v23, v2, v3, vcc
	v_cvt_pk_bf8_f32 v6, v23, v23
	v_and_b32_e32 v22, 0xff, v55
	v_cvt_pk_f32_bf8_e32 v[2:3], v9
	v_cvt_pk_f32_bf8_e32 v[8:9], v8
	v_and_b32_e32 v6, 0xff, v6
	v_cvt_pk_f32_bf8_e32 v[22:23], v22
	;;#ASMSTART
	v_pk_add_f32 v[22:23], v[22:23], v[2:3]
	;;#ASMEND
	v_cvt_pk_f32_bf8_e32 v[2:3], v6
	;;#ASMSTART
	v_pk_add_f32 v[8:9], v[2:3], v[8:9]
	;;#ASMEND
	v_cvt_f32_bf8_sdwa v6, v46 src0_sel:BYTE_0
	v_cvt_f32_bf8_sdwa v9, v38 src0_sel:BYTE_0
	v_add_co_u32_e32 v2, vcc, 0xffffff40, v14
	v_mul_f32_e32 v6, v62, v6
	s_nop 0
	v_addc_co_u32_e32 v3, vcc, -1, v15, vcc
	v_mul_f32_e32 v9, v62, v9
	v_med3_f32 v23, v6, s65, v29
	v_cmp_nlg_f32_e64 vcc, |v6|, s64
	v_cvt_pk_bf8_f32 v47, v22, v22
	v_cvt_pk_bf8_f32 v5, v8, v8
	v_cndmask_b32_e32 v6, v23, v6, vcc
	v_med3_f32 v23, v9, s65, v29
	v_cmp_nlg_f32_e64 vcc, |v9|, s64
	v_cvt_pk_bf8_f32 v33, v6, v6
	v_cvt_pk_f32_bf8_e32 v[28:29], v37
	v_cndmask_b32_e32 v9, v23, v9, vcc
	v_cvt_pk_bf8_f32 v36, v9, v9
	v_and_b32_e32 v6, 0xff, v33
	v_cvt_pk_f32_bf8_e32 v[32:33], v32
	v_cvt_f32_i32_e32 v1, v1
	v_and_b32_e32 v9, 0xff, v36
	v_cvt_pk_f32_bf8_e32 v[36:37], v6
	v_cvt_f32_bf8_sdwa v6, v31 src0_sel:BYTE_0
	;;#ASMSTART
	v_pk_add_f32 v[28:29], v[36:37], v[28:29]
	;;#ASMEND
	v_cvt_pk_f32_bf8_e32 v[36:37], v9
	;;#ASMSTART
	v_pk_add_f32 v[42:43], v[36:37], v[42:43]
	;;#ASMEND
	v_add_co_u32_e32 v36, vcc, 0xffffff80, v14
	v_mov_b32_e32 v43, 0xc7600000
	s_nop 0
	v_addc_co_u32_e32 v37, vcc, -1, v15, vcc
	v_mul_f32_e32 v6, v62, v6
	v_med3_f32 v9, v6, s65, v43
	v_cmp_nlg_f32_e64 vcc, |v6|, s64
	v_cvt_pk_bf8_f32 v34, v28, v28
	v_cvt_pk_bf8_f32 v54, v42, v42
	v_cndmask_b32_e32 v6, v9, v6, vcc
	v_cvt_pk_bf8_f32 v21, v6, v6
	v_cvt_f32_i32_e32 v8, v47
	v_cvt_f32_i32_e32 v5, v5
	v_med3_f32 v1, v1, s65, v43
	v_and_b32_e32 v6, 0xff, v21
	v_cvt_pk_f32_bf8_e32 v[30:31], v6
	v_accvgpr_read_b32 v6, a54
	v_cvt_f32_bf8_sdwa v6, v6 src0_sel:BYTE_0
	;;#ASMSTART
	v_pk_add_f32 v[30:31], v[30:31], v[32:33]
	;;#ASMEND
	v_add_co_u32_e32 v32, vcc, 0xffffffc0, v14
	v_mul_f32_e32 v6, v62, v6
	s_nop 0
	v_addc_co_u32_e32 v33, vcc, -1, v15, vcc
	v_med3_f32 v9, v6, s65, v43
	v_cmp_nlg_f32_e64 vcc, |v6|, s64
	v_cvt_pk_bf8_f32 v7, v30, v30
	v_cvt_pk_bf8_f32 v35, v1, v1
	v_cndmask_b32_e32 v6, v9, v6, vcc
	v_cvt_pk_bf8_f32 v20, v6, v6
	v_accvgpr_read_b32 v9, a55
	v_cvt_pk_f32_bf8_e32 v[44:45], v9
	v_cvt_f32_i32_e32 v9, v34
	v_and_b32_e32 v6, 0xff, v20
	v_cvt_pk_f32_bf8_e32 v[20:21], v6
	;;#ASMSTART
	v_pk_add_f32 v[20:21], v[20:21], v[44:45]
	;;#ASMEND
	v_cvt_f32_i32_e32 v6, v40
	v_cvt_pk_bf8_f32 v52, v20, v20
	v_cvt_f32_i32_e32 v20, v54
	v_cvt_f32_i32_e32 v7, v7
	v_med3_f32 v6, v6, s65, v43
	v_cvt_f32_i32_e32 v21, v52
	v_med3_f32 v8, v8, s65, v43
	v_cvt_pk_bf8_f32 v26, v6, v6
	v_med3_f32 v5, v5, s65, v43
	v_cvt_pk_bf8_f32 v27, v8, v8
	v_accvgpr_read_b32 v45, a33
	v_med3_f32 v9, v9, s65, v43
	v_med3_f32 v20, v20, s65, v43
	v_med3_f32 v7, v7, s65, v43
	v_med3_f32 v21, v21, s65, v43
	v_cvt_pk_bf8_f32 v48, v5, v5
	v_accvgpr_read_b32 v44, a32
	v_cvt_pk_bf8_f32 v41, v9, v9
	v_cvt_pk_bf8_f32 v4, v20, v20
	v_cvt_pk_bf8_f32 v0, v7, v7
	v_cvt_pk_bf8_f32 v39, v21, v21
	flat_store_byte v[18:19], v35 nt
	flat_store_byte v[56:57], v26 nt
	;; [unrolled: 1-line block ×8, first 2 shown]
	v_lshl_add_u64 v[14:15], v[14:15], 0, v[16:17]
	s_andn2_b64 exec, exec, s[46:47]
	s_cbranch_execnz .LBB2_134
; %bb.135:                              ;   in Loop: Header=BB2_49 Depth=1
	s_or_b64 exec, exec, s[46:47]
	v_accvgpr_read_b32 v37, a7
	v_accvgpr_read_b32 v31, a9
	;; [unrolled: 1-line block ×35, first 2 shown]
	v_mov_b32_e32 v21, 1
	v_accvgpr_read_b32 v54, a46
	v_accvgpr_read_b32 v40, a48
	;; [unrolled: 1-line block ×7, first 2 shown]
.LBB2_136:                              ;   in Loop: Header=BB2_49 Depth=1
	s_or_b64 exec, exec, s[42:43]
	v_and_b32_e32 v1, 0xfffffe00, v4
	v_cmp_ne_u32_e32 vcc, v4, v1
	s_and_b64 exec, exec, vcc
	s_cbranch_execz .LBB2_140
; %bb.137:                              ;   in Loop: Header=BB2_49 Depth=1
	v_lshlrev_b32_e32 v0, 6, v7
	v_sub_u32_e32 v0, v5, v0
	v_lshlrev_b32_e32 v2, 6, v49
	v_sub_u32_e32 v2, v0, v2
	v_and_b32_e32 v0, 0x1ff, v4
	v_sub_u32_e32 v0, v0, v2
	v_cmp_lt_i32_e32 vcc, 0, v0
	s_and_b64 exec, exec, vcc
	s_cbranch_execz .LBB2_140
; %bb.138:                              ;   in Loop: Header=BB2_49 Depth=1
	s_trap 2
	ds_read_b128 v[4:7], v0
	ds_read_b64 v[8:9], v0
	v_add3_u32 v12, v1, v10, v2
	v_ashrrev_i32_e32 v13, 31, v12
	s_mov_b64 s[18:19], 0
	s_waitcnt lgkmcnt(0)
	v_lshl_add_u64 v[2:3], v[4:5], 0, v[12:13]
	v_lshl_add_u64 v[10:11], v[6:7], 0, v[12:13]
	v_lshl_add_u64 v[12:13], v[8:9], 0, v[12:13]
.LBB2_139:                              ;   Parent Loop BB2_49 Depth=1
                                        ; =>  This Inner Loop Header: Depth=2
	s_trap 2
	flat_load_ubyte v1, v[2:3] nt
	flat_load_ubyte v4, v[10:11] nt
	ds_read_b32 v5, v0
	v_mov_b32_e32 v6, 0
	v_sub_u32_e32 v0, v0, v24
	v_lshl_add_u64 v[2:3], v[2:3], 0, v[24:25]
	v_lshl_add_u64 v[10:11], v[10:11], 0, v[24:25]
	s_waitcnt lgkmcnt(0)
	v_and_b32_e32 v5, 0xff, v5
	v_cvt_f32_bf8_sdwa v5, v5 src0_sel:BYTE_0
	s_waitcnt vmcnt(0)
	v_cvt_f32_bf8_sdwa v1, v1 src0_sel:BYTE_0
	s_nop 0
	v_mul_f32_e32 v1, v5, v1
	v_med3_f32 v5, v1, s65, v43
	v_cmp_nlg_f32_e64 vcc, |v1|, s64
	s_nop 1
	v_cndmask_b32_e32 v1, v5, v1, vcc
	v_cvt_pk_bf8_f32 v6, v1, v1
	v_cvt_pk_f32_bf8_e32 v[4:5], v4
	v_cmp_gt_i32_e32 vcc, 1, v0
	s_or_b64 s[18:19], vcc, s[18:19]
	v_and_b32_e32 v1, 0xff, v6
	v_cvt_pk_f32_bf8_e32 v[6:7], v1
	v_mov_b32_e32 v1, 0
	;;#ASMSTART
	v_pk_add_f32 v[4:5], v[6:7], v[4:5]
	;;#ASMEND
	s_nop 0
	v_cvt_pk_bf8_f32 v1, v4, v4
	v_mov_b32_e32 v4, 0
	v_cvt_f32_i32_e32 v1, v1
	v_med3_f32 v1, v1, s65, v43
	v_cvt_pk_bf8_f32 v4, v1, v1
	flat_store_byte v[12:13], v4 nt
	v_lshl_add_u64 v[12:13], v[12:13], 0, v[24:25]
	s_andn2_b64 exec, exec, s[18:19]
	s_cbranch_execnz .LBB2_139
.LBB2_140:                              ;   in Loop: Header=BB2_49 Depth=1
	s_or_b64 exec, exec, s[40:41]
	v_cmp_ne_u32_e64 s[18:19], 0, v55
	v_mov_b64_e32 v[48:49], v[30:31]
.LBB2_141:                              ;   in Loop: Header=BB2_49 Depth=1
	s_and_saveexec_b64 s[40:41], s[6:7]
	s_cbranch_execz .LBB2_160
; %bb.142:                              ;   in Loop: Header=BB2_49 Depth=1
	s_and_saveexec_b64 vcc, s[26:27]
	s_xor_b64 s[42:43], exec, vcc
	s_cbranch_execz .LBB2_157
; %bb.143:                              ;   in Loop: Header=BB2_49 Depth=1
	s_and_saveexec_b64 s[46:47], s[10:11]
	s_cbranch_execz .LBB2_156
; %bb.144:                              ;   in Loop: Header=BB2_49 Depth=1
	s_mov_b64 s[50:51], exec
	v_mbcnt_lo_u32_b32 v0, s50, 0
	v_mbcnt_hi_u32_b32 v0, s51, v0
	v_cmp_eq_u32_e32 vcc, 0, v0
	s_waitcnt lgkmcnt(0)
	s_and_saveexec_b64 s[48:49], vcc
	s_cbranch_execz .LBB2_146
; %bb.145:                              ;   in Loop: Header=BB2_49 Depth=1
	s_bcnt1_i32_b64 vcc_lo, s[50:51]
	v_mov_b32_e32 v18, vcc_lo
	ds_add_u64 v0, v[18:19]
	s_trap 2
.LBB2_146:                              ;   in Loop: Header=BB2_49 Depth=1
	s_or_b64 exec, exec, s[48:49]
	s_trap 2
	ds_read_b64 v[0:1], v0
	v_lshl_add_u64 v[34:35], v[34:35], 0, v[44:45]
	s_waitcnt lgkmcnt(0)
	v_cmp_lt_u64_e32 vcc, v[0:1], v[34:35]
	s_and_saveexec_b64 s[48:49], vcc
	s_cbranch_execz .LBB2_155
; %bb.147:                              ;   in Loop: Header=BB2_49 Depth=1
	s_mov_b32 s71, 0
	s_mov_b64 s[50:51], 0
                                        ; implicit-def: $sgpr52_sgpr53
                                        ; implicit-def: $sgpr54_sgpr55
	s_branch .LBB2_149
.LBB2_148:                              ;   in Loop: Header=BB2_149 Depth=2
	s_or_b64 exec, exec, s[58:59]
	s_and_b64 vcc, exec, vcc
	s_or_b64 s[50:51], vcc, s[50:51]
	s_andn2_b64 vcc, s[52:53], exec
	s_and_b64 s[52:53], s[54:55], exec
	s_or_b64 s[52:53], vcc, s[52:53]
	s_andn2_b64 exec, exec, s[50:51]
	s_cbranch_execz .LBB2_153
.LBB2_149:                              ;   Parent Loop BB2_49 Depth=1
                                        ; =>  This Inner Loop Header: Depth=2
	s_add_i32 s71, s71, 1
	s_cmpk_lg_i32 s71, 0x2710
	s_cselect_b64 s[56:57], -1, 0
	s_and_b64 vcc, exec, s[56:57]
                                        ; implicit-def: $sgpr58_sgpr59
	s_cbranch_vccnz .LBB2_151
; %bb.150:                              ;   in Loop: Header=BB2_149 Depth=2
	s_trap 2
	ds_read_b64 v[0:1], v0
	s_andn2_b64 s[56:57], s[56:57], exec
	s_mov_b32 s71, 0
	s_mov_b64 s[58:59], -1
	s_waitcnt vmcnt(0) lgkmcnt(0)
	flat_load_dword v0, v[0:1] sc0 sc1
	s_waitcnt vmcnt(0) lgkmcnt(0)
	buffer_inv sc0 sc1
	v_cmp_eq_u32_e32 vcc, 0, v0
	s_and_b64 vcc, vcc, exec
	s_or_b64 s[56:57], s[56:57], vcc
.LBB2_151:                              ;   in Loop: Header=BB2_149 Depth=2
	s_andn2_b64 s[54:55], s[54:55], exec
	s_and_b64 s[58:59], s[58:59], exec
	s_mov_b64 vcc, -1
	s_or_b64 s[54:55], s[54:55], s[58:59]
	s_and_saveexec_b64 s[58:59], s[56:57]
	s_cbranch_execz .LBB2_148
; %bb.152:                              ;   in Loop: Header=BB2_149 Depth=2
	s_sleep 1
	s_trap 2
	ds_read_b64 v[0:1], v0
	s_andn2_b64 s[54:55], s[54:55], exec
	s_waitcnt lgkmcnt(0)
	v_cmp_ge_u64_e32 vcc, v[0:1], v[34:35]
	s_orn2_b64 vcc, vcc, exec
	s_branch .LBB2_148
.LBB2_153:                              ;   in Loop: Header=BB2_49 Depth=1
	s_or_b64 exec, exec, s[50:51]
	s_and_saveexec_b64 vcc, s[52:53]
	s_xor_b64 vcc, exec, vcc
	s_cbranch_execz .LBB2_155
; %bb.154:                              ;   in Loop: Header=BB2_49 Depth=1
	ds_write_b32 v0, v21
	s_trap 2
.LBB2_155:                              ;   in Loop: Header=BB2_49 Depth=1
	s_or_b64 exec, exec, s[48:49]
	;;#ASMSTART
	s_wakeup
	;;#ASMEND
.LBB2_156:                              ;   in Loop: Header=BB2_49 Depth=1
	s_or_b64 exec, exec, s[46:47]
.LBB2_157:                              ;   in Loop: Header=BB2_49 Depth=1
	s_andn2_saveexec_b64 vcc, s[42:43]
	s_cbranch_execz .LBB2_159
; %bb.158:                              ;   in Loop: Header=BB2_49 Depth=1
	s_waitcnt lgkmcnt(0)
	s_barrier
.LBB2_159:                              ;   in Loop: Header=BB2_49 Depth=1
	s_or_b64 exec, exec, vcc
.LBB2_160:                              ;   in Loop: Header=BB2_49 Depth=1
	s_or_b64 exec, exec, s[40:41]
	v_and_b32_e32 v0, 16, v60
	v_cmp_ne_u32_e32 vcc, 0, v0
	s_and_b64 vcc, vcc, s[18:19]
	s_and_saveexec_b64 s[18:19], vcc
	s_cbranch_execz .LBB2_162
; %bb.161:                              ;   in Loop: Header=BB2_49 Depth=1
	buffer_wbl2 sc1
	s_waitcnt vmcnt(0) lgkmcnt(0)
	buffer_inv sc1
.LBB2_162:                              ;   in Loop: Header=BB2_49 Depth=1
	s_or_b64 exec, exec, s[18:19]
	v_cmp_ne_u32_e32 vcc, 0, v0
	s_xor_b64 s[18:19], s[16:17], -1
	s_and_b64 vcc, vcc, s[18:19]
	s_and_saveexec_b64 s[18:19], vcc
	s_cbranch_execz .LBB2_164
; %bb.163:                              ;   in Loop: Header=BB2_49 Depth=1
	flat_store_dword v[28:29], v21 sc0 sc1
.LBB2_164:                              ;   in Loop: Header=BB2_49 Depth=1
	s_or_b64 exec, exec, s[18:19]
	v_and_b32_e32 v0, 48, v60
	v_cmp_ne_u32_e32 vcc, 0, v0
	s_and_saveexec_b64 s[18:19], vcc
	s_cbranch_execz .LBB2_166
; %bb.165:                              ;   in Loop: Header=BB2_49 Depth=1
	v_lshl_add_u64 v[58:59], v[58:59], 0, 1
	flat_store_dwordx2 v[52:53], v[58:59] sc0 sc1
.LBB2_166:                              ;   in Loop: Header=BB2_49 Depth=1
	s_or_b64 exec, exec, s[18:19]
	v_mov_b32_e32 v0, v40
.LBB2_167:                              ;   in Loop: Header=BB2_49 Depth=1
	s_or_b64 exec, exec, s[38:39]
	s_and_saveexec_b64 s[38:39], s[36:37]
	s_cbranch_execz .LBB2_48
; %bb.168:                              ;   in Loop: Header=BB2_49 Depth=1
	v_and_b32_e32 v1, 12, v60
	v_cmp_ne_u32_e32 vcc, 0, v1
	s_mov_b64 s[36:37], -1
	v_lshl_add_u64 v[12:13], v[58:59], 0, 1
	s_and_saveexec_b64 s[18:19], vcc
	s_cbranch_execz .LBB2_180
; %bb.169:                              ;   in Loop: Header=BB2_49 Depth=1
	v_and_b32_e32 v18, 8, v60
	v_lshl_add_u64 v[2:3], v[26:27], 0, v[18:19]
	v_lshl_add_u64 v[10:11], v[58:59], 0, 1
	v_cmp_lt_u64_e32 vcc, v[2:3], v[10:11]
	v_mov_b32_e32 v1, 1
	s_and_saveexec_b64 s[36:37], vcc
	s_cbranch_execz .LBB2_179
; %bb.170:                              ;   in Loop: Header=BB2_49 Depth=1
	s_mov_b64 s[40:41], 0
	v_mov_b32_e32 v1, 0
                                        ; implicit-def: $sgpr42_sgpr43
	s_branch .LBB2_174
.LBB2_171:                              ;   in Loop: Header=BB2_174 Depth=2
	s_or_b64 exec, exec, s[52:53]
	v_mov_b32_e32 v2, 0
	s_orn2_b64 s[50:51], s[50:51], exec
.LBB2_172:                              ;   in Loop: Header=BB2_174 Depth=2
	s_or_b64 exec, exec, s[48:49]
	s_andn2_b64 vcc, s[42:43], exec
	s_and_b64 s[42:43], s[50:51], exec
	s_or_b64 s[42:43], vcc, s[42:43]
	v_mov_b32_e32 v1, v2
.LBB2_173:                              ;   in Loop: Header=BB2_174 Depth=2
	s_or_b64 exec, exec, s[46:47]
	s_waitcnt vmcnt(0) lgkmcnt(0)
	v_lshl_add_u64 v[2:3], v[26:27], 0, v[18:19]
	v_cmp_ge_u64_e32 vcc, v[2:3], v[10:11]
	s_xor_b64 s[46:47], s[42:43], -1
	s_or_b64 vcc, s[46:47], vcc
	s_and_b64 vcc, exec, vcc
	s_or_b64 s[40:41], vcc, s[40:41]
	s_andn2_b64 exec, exec, s[40:41]
	s_cbranch_execz .LBB2_178
.LBB2_174:                              ;   Parent Loop BB2_49 Depth=1
                                        ; =>  This Inner Loop Header: Depth=2
	s_sleep 1
	flat_load_dwordx2 v[26:27], v[52:53] sc0 sc1
	v_and_b32_e32 v2, 64, v60
	v_cmp_eq_u32_e32 vcc, 0, v2
	s_andn2_b64 s[42:43], s[42:43], exec
	s_and_saveexec_b64 s[46:47], vcc
	s_cbranch_execz .LBB2_173
; %bb.175:                              ;   in Loop: Header=BB2_174 Depth=2
	v_add_u32_e32 v2, 1, v1
	v_cmp_lt_i32_e32 vcc, s62, v1
	s_mov_b64 s[50:51], -1
	s_and_saveexec_b64 s[48:49], vcc
	s_cbranch_execz .LBB2_172
; %bb.176:                              ;   in Loop: Header=BB2_174 Depth=2
	s_trap 2
	ds_read_b64 v[2:3], v0
	s_waitcnt vmcnt(0) lgkmcnt(0)
	flat_load_dword v1, v[2:3] sc0 sc1
	s_waitcnt vmcnt(0) lgkmcnt(0)
	buffer_inv sc0 sc1
	v_cmp_ne_u32_e32 vcc, 0, v1
	s_and_saveexec_b64 s[52:53], vcc
	s_cbranch_execz .LBB2_171
; %bb.177:                              ;   in Loop: Header=BB2_174 Depth=2
	v_or_b32_e32 v60, 64, v60
	s_xor_b64 s[50:51], exec, -1
	ds_write_b32 v0, v1
	s_trap 2
	s_branch .LBB2_171
.LBB2_178:                              ;   in Loop: Header=BB2_49 Depth=1
	s_or_b64 exec, exec, s[40:41]
	v_and_b32_e32 v1, 12, v60
.LBB2_179:                              ;   in Loop: Header=BB2_49 Depth=1
	s_or_b64 exec, exec, s[36:37]
	v_cmp_eq_u32_e32 vcc, 0, v1
	s_orn2_b64 s[36:37], vcc, exec
	;;#ASMSTART
	s_wakeup
	;;#ASMEND
.LBB2_180:                              ;   in Loop: Header=BB2_49 Depth=1
	s_or_b64 exec, exec, s[18:19]
	v_sub_u32_e32 v0, v54, v0
	s_xor_b64 s[18:19], s[36:37], -1
	v_min_i32_e32 v10, v40, v0
	s_and_saveexec_b64 s[36:37], s[18:19]
	s_cbranch_execz .LBB2_192
; %bb.181:                              ;   in Loop: Header=BB2_49 Depth=1
	v_and_b32_e32 v0, 0x108, v60
	v_cmp_ne_u32_e32 vcc, s63, v0
	v_and_b32_e32 v2, 7, v58
	s_and_saveexec_b64 s[18:19], vcc
	s_xor_b64 s[18:19], exec, s[18:19]
	s_andn2_saveexec_b64 s[18:19], s[18:19]
	s_cbranch_execz .LBB2_183
; %bb.182:                              ;   in Loop: Header=BB2_49 Depth=1
	v_mad_u64_u32 v[0:1], vcc, v2, 24, v[56:57]
	v_ashrrev_i32_e32 v11, 31, v10
	flat_store_dwordx2 v[0:1], v[10:11] offset:8
.LBB2_183:                              ;   in Loop: Header=BB2_49 Depth=1
	s_or_b64 exec, exec, s[18:19]
	v_and_b32_e32 v0, 0x100, v60
	v_cmp_ne_u32_e32 vcc, 0, v0
	s_mov_b64 s[18:19], -1
                                        ; implicit-def: $vgpr8_vgpr9
	s_and_saveexec_b64 s[40:41], vcc
	s_cbranch_execz .LBB2_187
; %bb.184:                              ;   in Loop: Header=BB2_49 Depth=1
	v_mad_u64_u32 v[14:15], s[18:19], v2, 24, v[56:57]
	v_mov_b32_e32 v0, v15
	v_mad_u64_u32 v[0:1], s[18:19], v19, 24, v[0:1]
	v_mov_b32_e32 v15, v0
	flat_load_dword v0, v[14:15]
                                        ; implicit-def: $vgpr8_vgpr9
	s_waitcnt vmcnt(0) lgkmcnt(0)
	v_cmp_ne_u32_e32 vcc, 1, v0
	v_cmp_eq_u32_e64 s[18:19], 1, v0
	s_and_saveexec_b64 s[42:43], s[18:19]
	s_cbranch_execz .LBB2_186
; %bb.185:                              ;   in Loop: Header=BB2_49 Depth=1
	flat_load_dword v8, v[14:15] offset:4 sc0 sc1
	s_waitcnt vmcnt(0) lgkmcnt(0)
	v_ashrrev_i32_e32 v9, 31, v8
.LBB2_186:                              ;   in Loop: Header=BB2_49 Depth=1
	s_or_b64 exec, exec, s[42:43]
	v_accvgpr_read_b32 v14, a40
	s_orn2_b64 s[18:19], vcc, exec
	v_accvgpr_read_b32 v15, a41
.LBB2_187:                              ;   in Loop: Header=BB2_49 Depth=1
	s_or_b64 exec, exec, s[40:41]
	s_and_saveexec_b64 vcc, s[18:19]
; %bb.188:                              ;   in Loop: Header=BB2_49 Depth=1
	v_mul_lo_u32 v0, v19, v20
	v_mul_lo_u32 v1, v2, v17
	v_mad_u64_u32 v[8:9], s[18:19], v2, v20, 0
	v_add3_u32 v9, v9, v1, v0
; %bb.189:                              ;   in Loop: Header=BB2_49 Depth=1
	s_or_b64 exec, exec, vcc
	v_lshl_add_u64 v[0:1], v[22:23], 0, v[8:9]
	s_trap 2
	ds_write_b64 v0, v[0:1]
	v_and_b32_e32 v0, 0x2000, v60
	v_cmp_ne_u32_e32 vcc, 0, v0
	s_and_saveexec_b64 s[18:19], vcc
	s_cbranch_execz .LBB2_191
; %bb.190:                              ;   in Loop: Header=BB2_49 Depth=1
	ds_read_b64 v[0:1], v0 offset:584
	s_waitcnt lgkmcnt(0)
	v_lshl_add_u64 v[0:1], v[0:1], 0, 1
	ds_write_b64 v0, v[0:1] offset:584
.LBB2_191:                              ;   in Loop: Header=BB2_49 Depth=1
	s_or_b64 exec, exec, s[18:19]
	v_mov_b64_e32 v[58:59], v[12:13]
.LBB2_192:                              ;   in Loop: Header=BB2_49 Depth=1
	s_or_b64 exec, exec, s[36:37]
	s_and_saveexec_b64 s[18:19], s[6:7]
	s_cbranch_execz .LBB2_211
; %bb.193:                              ;   in Loop: Header=BB2_49 Depth=1
	s_and_saveexec_b64 vcc, s[26:27]
	s_xor_b64 s[36:37], exec, vcc
	s_cbranch_execz .LBB2_208
; %bb.194:                              ;   in Loop: Header=BB2_49 Depth=1
	s_and_saveexec_b64 s[40:41], s[10:11]
	s_cbranch_execz .LBB2_207
; %bb.195:                              ;   in Loop: Header=BB2_49 Depth=1
	s_mov_b64 s[46:47], exec
	v_mbcnt_lo_u32_b32 v0, s46, 0
	v_mbcnt_hi_u32_b32 v0, s47, v0
	v_cmp_eq_u32_e32 vcc, 0, v0
	s_waitcnt lgkmcnt(0)
	s_and_saveexec_b64 s[42:43], vcc
	s_cbranch_execz .LBB2_197
; %bb.196:                              ;   in Loop: Header=BB2_49 Depth=1
	s_bcnt1_i32_b64 vcc_lo, s[46:47]
	v_mov_b32_e32 v18, vcc_lo
	ds_add_u64 v0, v[18:19]
	s_trap 2
.LBB2_197:                              ;   in Loop: Header=BB2_49 Depth=1
	s_or_b64 exec, exec, s[42:43]
	s_trap 2
	ds_read_b64 v[0:1], v0
	v_lshl_add_u64 v[34:35], v[34:35], 0, v[44:45]
	s_waitcnt lgkmcnt(0)
	v_cmp_lt_u64_e32 vcc, v[0:1], v[34:35]
	s_and_saveexec_b64 s[42:43], vcc
	s_cbranch_execz .LBB2_206
; %bb.198:                              ;   in Loop: Header=BB2_49 Depth=1
	s_mov_b32 s56, 0
	s_mov_b64 s[46:47], 0
                                        ; implicit-def: $sgpr48_sgpr49
                                        ; implicit-def: $sgpr50_sgpr51
	s_branch .LBB2_200
.LBB2_199:                              ;   in Loop: Header=BB2_200 Depth=2
	s_or_b64 exec, exec, s[54:55]
	s_and_b64 vcc, exec, vcc
	s_or_b64 s[46:47], vcc, s[46:47]
	s_andn2_b64 vcc, s[48:49], exec
	s_and_b64 s[48:49], s[50:51], exec
	s_or_b64 s[48:49], vcc, s[48:49]
	s_andn2_b64 exec, exec, s[46:47]
	s_cbranch_execz .LBB2_204
.LBB2_200:                              ;   Parent Loop BB2_49 Depth=1
                                        ; =>  This Inner Loop Header: Depth=2
	s_add_i32 s56, s56, 1
	s_cmpk_lg_i32 s56, 0x2710
	s_cselect_b64 s[52:53], -1, 0
	s_and_b64 vcc, exec, s[52:53]
                                        ; implicit-def: $sgpr54_sgpr55
	s_cbranch_vccnz .LBB2_202
; %bb.201:                              ;   in Loop: Header=BB2_200 Depth=2
	s_trap 2
	ds_read_b64 v[0:1], v0
	s_andn2_b64 s[52:53], s[52:53], exec
	s_mov_b32 s56, 0
	s_mov_b64 s[54:55], -1
	s_waitcnt vmcnt(0) lgkmcnt(0)
	flat_load_dword v0, v[0:1] sc0 sc1
	s_waitcnt vmcnt(0) lgkmcnt(0)
	buffer_inv sc0 sc1
	v_cmp_eq_u32_e32 vcc, 0, v0
	s_and_b64 vcc, vcc, exec
	s_or_b64 s[52:53], s[52:53], vcc
.LBB2_202:                              ;   in Loop: Header=BB2_200 Depth=2
	s_andn2_b64 s[50:51], s[50:51], exec
	s_and_b64 s[54:55], s[54:55], exec
	s_mov_b64 vcc, -1
	s_or_b64 s[50:51], s[50:51], s[54:55]
	s_and_saveexec_b64 s[54:55], s[52:53]
	s_cbranch_execz .LBB2_199
; %bb.203:                              ;   in Loop: Header=BB2_200 Depth=2
	s_sleep 1
	s_trap 2
	ds_read_b64 v[0:1], v0
	s_andn2_b64 s[50:51], s[50:51], exec
	s_waitcnt lgkmcnt(0)
	v_cmp_ge_u64_e32 vcc, v[0:1], v[34:35]
	s_orn2_b64 vcc, vcc, exec
	s_branch .LBB2_199
.LBB2_204:                              ;   in Loop: Header=BB2_49 Depth=1
	s_or_b64 exec, exec, s[46:47]
	s_and_saveexec_b64 vcc, s[48:49]
	s_xor_b64 vcc, exec, vcc
	s_cbranch_execz .LBB2_206
; %bb.205:                              ;   in Loop: Header=BB2_49 Depth=1
	ds_write_b32 v0, v21
	s_trap 2
.LBB2_206:                              ;   in Loop: Header=BB2_49 Depth=1
	s_or_b64 exec, exec, s[42:43]
	;;#ASMSTART
	s_wakeup
	;;#ASMEND
.LBB2_207:                              ;   in Loop: Header=BB2_49 Depth=1
	s_or_b64 exec, exec, s[40:41]
.LBB2_208:                              ;   in Loop: Header=BB2_49 Depth=1
	s_andn2_saveexec_b64 vcc, s[36:37]
	s_cbranch_execz .LBB2_210
; %bb.209:                              ;   in Loop: Header=BB2_49 Depth=1
	s_waitcnt lgkmcnt(0)
	s_barrier
.LBB2_210:                              ;   in Loop: Header=BB2_49 Depth=1
	s_or_b64 exec, exec, vcc
.LBB2_211:                              ;   in Loop: Header=BB2_49 Depth=1
	s_or_b64 exec, exec, s[18:19]
	s_trap 2
	ds_read_b32 v1, v0
	v_cmp_lt_i32_e32 vcc, 0, v10
	v_and_b32_e32 v0, 16, v60
	s_waitcnt lgkmcnt(0)
	v_readfirstlane_b32 s18, v1
	s_cmp_eq_u32 s18, 0
	s_cselect_b64 s[18:19], -1, 0
	s_and_b64 s[18:19], vcc, s[18:19]
	v_cmp_ne_u32_e32 vcc, 0, v0
	s_and_b64 vcc, vcc, s[18:19]
	s_and_saveexec_b64 s[18:19], vcc
	s_cbranch_execz .LBB2_213
; %bb.212:                              ;   in Loop: Header=BB2_49 Depth=1
	buffer_wbl2 sc1
	s_waitcnt vmcnt(0)
	buffer_inv sc1
.LBB2_213:                              ;   in Loop: Header=BB2_49 Depth=1
	s_or_b64 exec, exec, s[18:19]
	v_cmp_ne_u32_e32 vcc, 0, v0
	s_xor_b64 s[18:19], s[16:17], -1
	s_and_b64 vcc, vcc, s[18:19]
	s_and_saveexec_b64 s[18:19], vcc
	s_cbranch_execz .LBB2_215
; %bb.214:                              ;   in Loop: Header=BB2_49 Depth=1
	flat_store_dword v[28:29], v21 sc0 sc1
.LBB2_215:                              ;   in Loop: Header=BB2_49 Depth=1
	s_or_b64 exec, exec, s[18:19]
	v_and_b32_e32 v0, 48, v60
	v_cmp_ne_u32_e32 vcc, 0, v0
	s_and_saveexec_b64 s[18:19], vcc
	s_cbranch_execz .LBB2_47
; %bb.216:                              ;   in Loop: Header=BB2_49 Depth=1
	v_lshl_add_u64 v[58:59], v[58:59], 0, 1
	flat_store_dwordx2 v[52:53], v[58:59] sc0 sc1
	s_branch .LBB2_47
.LBB2_217:
	s_or_b64 exec, exec, s[28:29]
.LBB2_218:
	s_or_b64 exec, exec, s[24:25]
                                        ; implicit-def: $vgpr48_vgpr49
                                        ; implicit-def: $vgpr36_vgpr37
                                        ; implicit-def: $vgpr20
                                        ; implicit-def: $vgpr26_vgpr27
                                        ; implicit-def: $vgpr22_vgpr23
                                        ; implicit-def: $vgpr52_vgpr53
                                        ; implicit-def: $vgpr47
                                        ; implicit-def: $vgpr15
                                        ; implicit-def: $vgpr38_vgpr39
.LBB2_219:
	s_andn2_saveexec_b64 s[16:17], s[22:23]
	s_cbranch_execz .LBB2_386
; %bb.220:
	v_mov_b64_e32 v[34:35], 0
	s_and_saveexec_b64 s[18:19], s[2:3]
	s_cbranch_execz .LBB2_385
; %bb.221:
	v_accvgpr_read_b32 v0, a2
	v_cmp_ne_u32_sdwa s[22:23], v0, v61 src0_sel:WORD_0 src1_sel:DWORD
	v_accvgpr_read_b32 v0, a1
	v_and_b32_e32 v0, 63, v0
	v_cmp_eq_u32_e64 s[6:7], 0, v0
	v_ashrrev_i32_e32 v0, 31, v47
	v_lshrrev_b32_e32 v0, 26, v0
	v_add_u32_e32 v0, v47, v0
	v_and_b32_e32 v1, 0xffffffc0, v0
	v_ashrrev_i32_e32 v0, 6, v0
	v_sub_u32_e32 v0, 0, v0
	v_sub_u32_e32 v1, v47, v1
	v_accvgpr_write_b32 a32, v0
	v_lshlrev_b32_e32 v0, 4, v47
	s_waitcnt lgkmcnt(0)
	v_lshrrev_b32_e32 v28, 6, v61
	v_cmp_le_i32_e64 s[10:11], v1, v15
	v_accvgpr_write_b32 a30, v1
	v_cmp_gt_i32_e64 s[12:13], 1, v1
	v_ashrrev_i32_e32 v1, 31, v0
	v_accvgpr_write_b32 a35, v1
	v_lshlrev_b32_e32 v33, 10, v28
	v_accvgpr_write_b32 a34, v0
	v_add_u32_e32 v0, 0xfffffc00, v33
	v_ashrrev_i32_e32 v1, 31, v0
	s_mov_b64 s[14:15], 0x400
	v_lshl_add_u64 v[14:15], v[0:1], 0, s[14:15]
	v_mov_b32_e32 v0, 0xfffffe00
	v_lshl_add_u32 v0, v28, 9, v0
	s_ashr_i32 s2, s60, 31
	v_ashrrev_i32_e32 v1, 31, v0
	s_mov_b64 s[14:15], 0x200
	v_and_b32_e32 v18, 0xffffffc0, v61
	s_lshr_b32 s2, s2, 24
	v_lshl_add_u64 v[40:41], v[0:1], 0, s[14:15]
	v_ashrrev_i32_e32 v19, 31, v18
	s_add_i32 s2, s60, s2
	v_cmp_eq_u32_e32 vcc, 64, v61
	v_mov_b32_e32 v17, 0
	v_mov_b64_e32 v[24:25], 0
	v_accvgpr_write_b32 a6, v36
	v_accvgpr_write_b32 a8, v48
	;; [unrolled: 1-line block ×6, first 2 shown]
	s_ashr_i32 s56, s2, 8
	v_cmp_ge_i32_e64 s[2:3], v47, v61
	v_cmp_ne_u32_e64 s[4:5], 64, v61
	v_mov_b32_e32 v29, v17
	s_mov_b64 s[24:25], 0
	s_movk_i32 s57, 0x270e
	s_xor_b64 s[26:27], vcc, -1
	s_mov_b32 s58, 0x7f800000
	s_mov_b32 s59, 0x47600000
	;; [unrolled: 1-line block ×4, first 2 shown]
	s_mov_b64 s[28:29], 0x1c0
	s_movk_i32 s63, 0xfe40
	s_movk_i32 s64, 0xfe80
	;; [unrolled: 1-line block ×3, first 2 shown]
	v_mov_b32_e32 v21, 0xc7600000
	v_mov_b64_e32 v[34:35], v[24:25]
	v_accvgpr_write_b32 a3, v47
	v_accvgpr_write_b32 a7, v37
	;; [unrolled: 1-line block ×8, first 2 shown]
	s_trap 2
	s_branch .LBB2_224
.LBB2_222:                              ;   in Loop: Header=BB2_224 Depth=1
	s_or_b64 exec, exec, s[14:15]
.LBB2_223:                              ;   in Loop: Header=BB2_224 Depth=1
	s_or_b64 exec, exec, s[34:35]
	v_lshl_add_u64 v[24:25], v[24:25], 0, v[38:39]
	v_cmp_ge_u64_e32 vcc, v[24:25], v[36:37]
	s_or_b64 s[24:25], vcc, s[24:25]
	s_andn2_b64 exec, exec, s[24:25]
	s_cbranch_execz .LBB2_384
.LBB2_224:                              ; =>This Loop Header: Depth=1
                                        ;     Child Loop BB2_235 Depth 2
                                        ;     Child Loop BB2_257 Depth 2
	;; [unrolled: 1-line block ×10, first 2 shown]
	v_sub_co_u32_e32 v0, vcc, v36, v24
	s_nop 1
	v_subb_co_u32_e32 v1, vcc, v37, v25, vcc
	v_cmp_lt_u64_e32 vcc, v[38:39], v[0:1]
	s_nop 1
	v_cndmask_b32_e64 v31, v1, 0, vcc
	v_cndmask_b32_e32 v30, v0, v38, vcc
	v_add_u32_e32 v0, 15, v30
	v_cmp_eq_u64_e32 vcc, 0, v[30:31]
	v_and_b32_e32 v0, 0x7ffffff0, v0
	s_or_b64 s[30:31], s[2:3], vcc
	v_max_i32_e32 v32, s56, v0
	s_xor_b64 s[14:15], s[30:31], -1
	v_mov_b32_e32 v0, 0
	s_and_saveexec_b64 s[34:35], s[14:15]
	s_cbranch_execz .LBB2_338
; %bb.225:                              ;   in Loop: Header=BB2_224 Depth=1
	s_and_saveexec_b64 s[14:15], s[0:1]
	s_cbranch_execz .LBB2_227
; %bb.226:                              ;   in Loop: Header=BB2_224 Depth=1
	s_trap 2
	ds_read2_b64 v[0:3], v0 offset1:1
	v_lshl_add_u64 v[4:5], v[24:25], 0, v[48:49]
	s_waitcnt lgkmcnt(0)
	ds_read_b64 v[6:7], v0
	v_lshl_add_u64 v[0:1], v[0:1], 0, v[4:5]
	v_lshl_add_u64 v[2:3], v[2:3], 0, v[4:5]
	ds_write_b64 v0, v[0:1]
	ds_write_b64 v0, v[2:3]
	s_waitcnt lgkmcnt(0)
	v_lshl_add_u64 v[0:1], v[6:7], 0, v[4:5]
	v_cmp_ne_u64_e32 vcc, 0, v[6:7]
	s_nop 1
	v_cndmask_b32_e32 v1, 0, v1, vcc
	v_cndmask_b32_e32 v0, 0, v0, vcc
	ds_write_b64 v0, v[0:1]
.LBB2_227:                              ;   in Loop: Header=BB2_224 Depth=1
	s_or_b64 exec, exec, s[14:15]
	v_and_b32_e32 v0, 4, v60
	v_cmp_ne_u32_e32 vcc, 0, v0
	s_mov_b64 s[36:37], -1
	v_lshl_add_u64 v[10:11], v[58:59], 0, 1
	s_and_saveexec_b64 s[14:15], vcc
	s_cbranch_execnz .LBB2_230
; %bb.228:                              ;   in Loop: Header=BB2_224 Depth=1
	s_or_b64 exec, exec, s[14:15]
	s_xor_b64 s[14:15], s[36:37], -1
	s_and_saveexec_b64 s[36:37], s[14:15]
	s_cbranch_execnz .LBB2_241
.LBB2_229:                              ;   in Loop: Header=BB2_224 Depth=1
	s_or_b64 exec, exec, s[36:37]
	s_and_saveexec_b64 s[14:15], s[4:5]
	s_cbranch_execnz .LBB2_250
	s_branch .LBB2_268
.LBB2_230:                              ;   in Loop: Header=BB2_224 Depth=1
	v_lshl_add_u64 v[12:13], v[58:59], 0, 1
	v_cmp_lt_u64_e32 vcc, v[26:27], v[12:13]
	v_mov_b32_e32 v0, 1
	s_and_saveexec_b64 s[36:37], vcc
	s_cbranch_execz .LBB2_240
; %bb.231:                              ;   in Loop: Header=BB2_224 Depth=1
	s_mov_b64 s[38:39], 0
	v_mov_b32_e32 v0, 0
                                        ; implicit-def: $sgpr40_sgpr41
	s_branch .LBB2_235
.LBB2_232:                              ;   in Loop: Header=BB2_235 Depth=2
	s_or_b64 exec, exec, s[50:51]
	v_mov_b32_e32 v1, 0
	s_orn2_b64 s[48:49], s[48:49], exec
.LBB2_233:                              ;   in Loop: Header=BB2_235 Depth=2
	s_or_b64 exec, exec, s[46:47]
	s_andn2_b64 vcc, s[40:41], exec
	s_and_b64 s[40:41], s[48:49], exec
	s_or_b64 s[40:41], vcc, s[40:41]
	v_mov_b32_e32 v0, v1
.LBB2_234:                              ;   in Loop: Header=BB2_235 Depth=2
	s_or_b64 exec, exec, s[42:43]
	s_waitcnt vmcnt(0) lgkmcnt(0)
	v_cmp_ge_u64_e32 vcc, v[26:27], v[12:13]
	s_xor_b64 s[42:43], s[40:41], -1
	s_or_b64 vcc, s[42:43], vcc
	s_and_b64 vcc, exec, vcc
	s_or_b64 s[38:39], vcc, s[38:39]
	s_andn2_b64 exec, exec, s[38:39]
	s_cbranch_execz .LBB2_239
.LBB2_235:                              ;   Parent Loop BB2_224 Depth=1
                                        ; =>  This Inner Loop Header: Depth=2
	s_sleep 1
	flat_load_dwordx2 v[26:27], v[52:53] sc0 sc1
	v_and_b32_e32 v1, 64, v60
	v_cmp_eq_u32_e32 vcc, 0, v1
	s_andn2_b64 s[40:41], s[40:41], exec
	s_and_saveexec_b64 s[42:43], vcc
	s_cbranch_execz .LBB2_234
; %bb.236:                              ;   in Loop: Header=BB2_235 Depth=2
	v_add_u32_e32 v1, 1, v0
	v_cmp_lt_i32_e32 vcc, s57, v0
	s_mov_b64 s[48:49], -1
	s_and_saveexec_b64 s[46:47], vcc
	s_cbranch_execz .LBB2_233
; %bb.237:                              ;   in Loop: Header=BB2_235 Depth=2
	s_trap 2
	ds_read_b64 v[0:1], v0
	s_waitcnt vmcnt(0) lgkmcnt(0)
	flat_load_dword v0, v[0:1] sc0 sc1
	s_waitcnt vmcnt(0) lgkmcnt(0)
	buffer_inv sc0 sc1
	v_cmp_ne_u32_e32 vcc, 0, v0
	s_and_saveexec_b64 s[50:51], vcc
	s_cbranch_execz .LBB2_232
; %bb.238:                              ;   in Loop: Header=BB2_235 Depth=2
	v_or_b32_e32 v60, 64, v60
	s_xor_b64 s[48:49], exec, -1
	ds_write_b32 v0, v0
	s_trap 2
	s_branch .LBB2_232
.LBB2_239:                              ;   in Loop: Header=BB2_224 Depth=1
	s_or_b64 exec, exec, s[38:39]
	v_and_b32_e32 v0, 4, v60
.LBB2_240:                              ;   in Loop: Header=BB2_224 Depth=1
	s_or_b64 exec, exec, s[36:37]
	v_cmp_eq_u32_e32 vcc, 0, v0
	s_orn2_b64 s[36:37], vcc, exec
	;;#ASMSTART
	s_wakeup
	;;#ASMEND
	s_or_b64 exec, exec, s[14:15]
	s_xor_b64 s[14:15], s[36:37], -1
	s_and_saveexec_b64 s[36:37], s[14:15]
	s_cbranch_execz .LBB2_229
.LBB2_241:                              ;   in Loop: Header=BB2_224 Depth=1
	v_and_b32_e32 v0, 0x100, v60
	v_cmp_ne_u32_e32 vcc, 0, v0
	v_and_b32_e32 v0, 7, v58
	s_mov_b64 s[14:15], -1
                                        ; implicit-def: $vgpr2_vgpr3
	s_and_saveexec_b64 s[38:39], vcc
	s_cbranch_execz .LBB2_245
; %bb.242:                              ;   in Loop: Header=BB2_224 Depth=1
	v_mad_u64_u32 v[8:9], s[14:15], v0, 24, v[56:57]
	flat_load_dword v1, v[8:9]
                                        ; implicit-def: $vgpr2_vgpr3
	s_waitcnt vmcnt(0) lgkmcnt(0)
	v_cmp_ne_u32_e32 vcc, 1, v1
	v_cmp_eq_u32_e64 s[14:15], 1, v1
	s_and_saveexec_b64 s[40:41], s[14:15]
	s_cbranch_execz .LBB2_244
; %bb.243:                              ;   in Loop: Header=BB2_224 Depth=1
	flat_load_dword v2, v[8:9] offset:4 sc0 sc1
	s_waitcnt vmcnt(0) lgkmcnt(0)
	v_ashrrev_i32_e32 v3, 31, v2
.LBB2_244:                              ;   in Loop: Header=BB2_224 Depth=1
	s_or_b64 exec, exec, s[40:41]
	s_orn2_b64 s[14:15], vcc, exec
.LBB2_245:                              ;   in Loop: Header=BB2_224 Depth=1
	s_or_b64 exec, exec, s[38:39]
	s_and_saveexec_b64 vcc, s[14:15]
; %bb.246:                              ;   in Loop: Header=BB2_224 Depth=1
	v_mad_i64_i32 v[2:3], s[14:15], v0, v20, 0
; %bb.247:                              ;   in Loop: Header=BB2_224 Depth=1
	s_or_b64 exec, exec, vcc
	v_lshl_add_u64 v[0:1], v[22:23], 0, v[2:3]
	ds_write_b64 v0, v[0:1] offset:728
	v_and_b32_e32 v0, 0x2000, v60
	v_cmp_ne_u32_e32 vcc, 0, v0
	s_and_saveexec_b64 s[14:15], vcc
	s_cbranch_execz .LBB2_249
; %bb.248:                              ;   in Loop: Header=BB2_224 Depth=1
	ds_read_b64 v[0:1], v0 offset:584
	s_waitcnt lgkmcnt(0)
	v_lshl_add_u64 v[0:1], v[0:1], 0, 1
	ds_write_b64 v0, v[0:1] offset:584
.LBB2_249:                              ;   in Loop: Header=BB2_224 Depth=1
	s_or_b64 exec, exec, s[14:15]
	v_mov_b64_e32 v[58:59], v[10:11]
	s_or_b64 exec, exec, s[36:37]
	s_and_saveexec_b64 s[14:15], s[4:5]
	s_cbranch_execz .LBB2_268
.LBB2_250:                              ;   in Loop: Header=BB2_224 Depth=1
	s_and_saveexec_b64 vcc, s[22:23]
	s_xor_b64 s[36:37], exec, vcc
	s_cbranch_execz .LBB2_265
; %bb.251:                              ;   in Loop: Header=BB2_224 Depth=1
	s_and_saveexec_b64 s[38:39], s[6:7]
	s_cbranch_execz .LBB2_264
; %bb.252:                              ;   in Loop: Header=BB2_224 Depth=1
	s_mov_b64 s[42:43], exec
	v_mbcnt_lo_u32_b32 v0, s42, 0
	v_mbcnt_hi_u32_b32 v0, s43, v0
	v_cmp_eq_u32_e32 vcc, 0, v0
	s_waitcnt lgkmcnt(0)
	s_and_saveexec_b64 s[40:41], vcc
	s_cbranch_execz .LBB2_254
; %bb.253:                              ;   in Loop: Header=BB2_224 Depth=1
	s_bcnt1_i32_b64 vcc_lo, s[42:43]
	v_mov_b32_e32 v16, vcc_lo
	ds_add_u64 v0, v[16:17]
	s_trap 2
.LBB2_254:                              ;   in Loop: Header=BB2_224 Depth=1
	s_or_b64 exec, exec, s[40:41]
	s_trap 2
	ds_read_b64 v[0:1], v0
	v_lshl_add_u64 v[34:35], v[34:35], 0, v[28:29]
	s_waitcnt lgkmcnt(0)
	v_cmp_lt_u64_e32 vcc, v[0:1], v[34:35]
	s_and_saveexec_b64 s[40:41], vcc
	s_cbranch_execz .LBB2_263
; %bb.255:                              ;   in Loop: Header=BB2_224 Depth=1
	s_mov_b32 s54, 0
	s_mov_b64 s[42:43], 0
                                        ; implicit-def: $sgpr46_sgpr47
                                        ; implicit-def: $sgpr48_sgpr49
	s_branch .LBB2_257
.LBB2_256:                              ;   in Loop: Header=BB2_257 Depth=2
	s_or_b64 exec, exec, s[52:53]
	s_and_b64 vcc, exec, vcc
	s_or_b64 s[42:43], vcc, s[42:43]
	s_andn2_b64 vcc, s[46:47], exec
	s_and_b64 s[46:47], s[48:49], exec
	s_or_b64 s[46:47], vcc, s[46:47]
	s_andn2_b64 exec, exec, s[42:43]
	s_cbranch_execz .LBB2_261
.LBB2_257:                              ;   Parent Loop BB2_224 Depth=1
                                        ; =>  This Inner Loop Header: Depth=2
	s_add_i32 s54, s54, 1
	s_cmpk_lg_i32 s54, 0x2710
	s_cselect_b64 s[50:51], -1, 0
	s_and_b64 vcc, exec, s[50:51]
                                        ; implicit-def: $sgpr52_sgpr53
	s_cbranch_vccnz .LBB2_259
; %bb.258:                              ;   in Loop: Header=BB2_257 Depth=2
	s_trap 2
	ds_read_b64 v[0:1], v0
	s_andn2_b64 s[50:51], s[50:51], exec
	s_mov_b32 s54, 0
	s_mov_b64 s[52:53], -1
	s_waitcnt vmcnt(0) lgkmcnt(0)
	flat_load_dword v0, v[0:1] sc0 sc1
	s_waitcnt vmcnt(0) lgkmcnt(0)
	buffer_inv sc0 sc1
	v_cmp_eq_u32_e32 vcc, 0, v0
	s_and_b64 vcc, vcc, exec
	s_or_b64 s[50:51], s[50:51], vcc
.LBB2_259:                              ;   in Loop: Header=BB2_257 Depth=2
	s_andn2_b64 s[48:49], s[48:49], exec
	s_and_b64 s[52:53], s[52:53], exec
	s_mov_b64 vcc, -1
	s_or_b64 s[48:49], s[48:49], s[52:53]
	s_and_saveexec_b64 s[52:53], s[50:51]
	s_cbranch_execz .LBB2_256
; %bb.260:                              ;   in Loop: Header=BB2_257 Depth=2
	s_sleep 1
	s_trap 2
	ds_read_b64 v[0:1], v0
	s_andn2_b64 s[48:49], s[48:49], exec
	s_waitcnt lgkmcnt(0)
	v_cmp_ge_u64_e32 vcc, v[0:1], v[34:35]
	s_orn2_b64 vcc, vcc, exec
	s_branch .LBB2_256
.LBB2_261:                              ;   in Loop: Header=BB2_224 Depth=1
	s_or_b64 exec, exec, s[42:43]
	s_and_saveexec_b64 vcc, s[46:47]
	s_xor_b64 vcc, exec, vcc
	s_cbranch_execz .LBB2_263
; %bb.262:                              ;   in Loop: Header=BB2_224 Depth=1
	v_mov_b32_e32 v0, 1
	ds_write_b32 v0, v0
	s_trap 2
.LBB2_263:                              ;   in Loop: Header=BB2_224 Depth=1
	s_or_b64 exec, exec, s[40:41]
	;;#ASMSTART
	s_wakeup
	;;#ASMEND
.LBB2_264:                              ;   in Loop: Header=BB2_224 Depth=1
	s_or_b64 exec, exec, s[38:39]
.LBB2_265:                              ;   in Loop: Header=BB2_224 Depth=1
	s_andn2_saveexec_b64 vcc, s[36:37]
	s_cbranch_execz .LBB2_267
; %bb.266:                              ;   in Loop: Header=BB2_224 Depth=1
	s_waitcnt lgkmcnt(0)
	s_barrier
.LBB2_267:                              ;   in Loop: Header=BB2_224 Depth=1
	s_or_b64 exec, exec, vcc
.LBB2_268:                              ;   in Loop: Header=BB2_224 Depth=1
	s_or_b64 exec, exec, s[14:15]
	s_trap 2
	ds_read_b32 v0, v0
	v_and_b32_e32 v1, 0x4000, v60
	v_cmp_ne_u32_e32 vcc, 0, v1
	s_and_b64 vcc, s[26:27], vcc
	s_and_saveexec_b64 s[14:15], vcc
	s_cbranch_execz .LBB2_287
; %bb.269:                              ;   in Loop: Header=BB2_224 Depth=1
	s_and_saveexec_b64 vcc, s[22:23]
	s_xor_b64 s[36:37], exec, vcc
	s_cbranch_execz .LBB2_284
; %bb.270:                              ;   in Loop: Header=BB2_224 Depth=1
	s_and_saveexec_b64 s[38:39], s[6:7]
	s_cbranch_execz .LBB2_283
; %bb.271:                              ;   in Loop: Header=BB2_224 Depth=1
	s_mov_b64 s[42:43], exec
	v_mbcnt_lo_u32_b32 v1, s42, 0
	v_mbcnt_hi_u32_b32 v1, s43, v1
	v_cmp_eq_u32_e32 vcc, 0, v1
	s_waitcnt lgkmcnt(0)
	s_and_saveexec_b64 s[40:41], vcc
	s_cbranch_execz .LBB2_273
; %bb.272:                              ;   in Loop: Header=BB2_224 Depth=1
	s_bcnt1_i32_b64 vcc_lo, s[42:43]
	v_mov_b32_e32 v16, vcc_lo
	ds_add_u64 v0, v[16:17]
	s_trap 2
.LBB2_273:                              ;   in Loop: Header=BB2_224 Depth=1
	s_or_b64 exec, exec, s[40:41]
	s_trap 2
	ds_read_b64 v[2:3], v0
	v_lshl_add_u64 v[34:35], v[34:35], 0, v[28:29]
	s_waitcnt lgkmcnt(0)
	v_cmp_lt_u64_e32 vcc, v[2:3], v[34:35]
	s_and_saveexec_b64 s[40:41], vcc
	s_cbranch_execz .LBB2_282
; %bb.274:                              ;   in Loop: Header=BB2_224 Depth=1
	s_mov_b32 s54, 0
	s_mov_b64 s[42:43], 0
                                        ; implicit-def: $sgpr46_sgpr47
                                        ; implicit-def: $sgpr48_sgpr49
	s_branch .LBB2_276
.LBB2_275:                              ;   in Loop: Header=BB2_276 Depth=2
	s_or_b64 exec, exec, s[52:53]
	s_and_b64 vcc, exec, vcc
	s_or_b64 s[42:43], vcc, s[42:43]
	s_andn2_b64 vcc, s[46:47], exec
	s_and_b64 s[46:47], s[48:49], exec
	s_or_b64 s[46:47], vcc, s[46:47]
	s_andn2_b64 exec, exec, s[42:43]
	s_cbranch_execz .LBB2_280
.LBB2_276:                              ;   Parent Loop BB2_224 Depth=1
                                        ; =>  This Inner Loop Header: Depth=2
	s_add_i32 s54, s54, 1
	s_cmpk_lg_i32 s54, 0x2710
	s_cselect_b64 s[50:51], -1, 0
	s_and_b64 vcc, exec, s[50:51]
                                        ; implicit-def: $sgpr52_sgpr53
	s_cbranch_vccnz .LBB2_278
; %bb.277:                              ;   in Loop: Header=BB2_276 Depth=2
	s_trap 2
	ds_read_b64 v[2:3], v0
	s_andn2_b64 s[50:51], s[50:51], exec
	s_mov_b32 s54, 0
	s_mov_b64 s[52:53], -1
	s_waitcnt vmcnt(0) lgkmcnt(0)
	flat_load_dword v1, v[2:3] sc0 sc1
	s_waitcnt vmcnt(0) lgkmcnt(0)
	buffer_inv sc0 sc1
	v_cmp_eq_u32_e32 vcc, 0, v1
	s_and_b64 vcc, vcc, exec
	s_or_b64 s[50:51], s[50:51], vcc
.LBB2_278:                              ;   in Loop: Header=BB2_276 Depth=2
	s_andn2_b64 s[48:49], s[48:49], exec
	s_and_b64 s[52:53], s[52:53], exec
	s_mov_b64 vcc, -1
	s_or_b64 s[48:49], s[48:49], s[52:53]
	s_and_saveexec_b64 s[52:53], s[50:51]
	s_cbranch_execz .LBB2_275
; %bb.279:                              ;   in Loop: Header=BB2_276 Depth=2
	s_sleep 1
	s_trap 2
	ds_read_b64 v[2:3], v0
	s_andn2_b64 s[48:49], s[48:49], exec
	s_waitcnt lgkmcnt(0)
	v_cmp_ge_u64_e32 vcc, v[2:3], v[34:35]
	s_orn2_b64 vcc, vcc, exec
	s_branch .LBB2_275
.LBB2_280:                              ;   in Loop: Header=BB2_224 Depth=1
	s_or_b64 exec, exec, s[42:43]
	s_and_saveexec_b64 vcc, s[46:47]
	s_xor_b64 vcc, exec, vcc
	s_cbranch_execz .LBB2_282
; %bb.281:                              ;   in Loop: Header=BB2_224 Depth=1
	v_mov_b32_e32 v1, 1
	ds_write_b32 v0, v1
	s_trap 2
.LBB2_282:                              ;   in Loop: Header=BB2_224 Depth=1
	s_or_b64 exec, exec, s[40:41]
	;;#ASMSTART
	s_wakeup
	;;#ASMEND
.LBB2_283:                              ;   in Loop: Header=BB2_224 Depth=1
	s_or_b64 exec, exec, s[38:39]
.LBB2_284:                              ;   in Loop: Header=BB2_224 Depth=1
	s_andn2_saveexec_b64 vcc, s[36:37]
	s_cbranch_execz .LBB2_286
; %bb.285:                              ;   in Loop: Header=BB2_224 Depth=1
	s_waitcnt lgkmcnt(0)
	s_barrier
.LBB2_286:                              ;   in Loop: Header=BB2_224 Depth=1
	s_or_b64 exec, exec, vcc
.LBB2_287:                              ;   in Loop: Header=BB2_224 Depth=1
	s_or_b64 exec, exec, s[14:15]
	s_trap 2
	s_waitcnt lgkmcnt(0)
	ds_read_b64 v[2:3], v0
	v_min_u32_e32 v32, v32, v30
	s_waitcnt lgkmcnt(0)
	v_readfirstlane_b32 s14, v2
	v_readfirstlane_b32 s15, v3
	s_cmp_eq_u64 s[14:15], 0
	s_cselect_b64 s[14:15], -1, 0
	s_or_b64 vcc, s[14:15], s[14:15]
	s_mov_b64 s[14:15], 0
	s_and_b64 vcc, exec, vcc
	s_cbranch_vccnz .LBB2_314
; %bb.288:                              ;   in Loop: Header=BB2_224 Depth=1
	s_mov_b64 s[14:15], -1
	s_and_saveexec_b64 s[36:37], s[10:11]
	s_cbranch_execz .LBB2_290
; %bb.289:                              ;   in Loop: Header=BB2_224 Depth=1
	ds_read_b32 v1, v0 offset:720
	s_waitcnt lgkmcnt(0)
	v_and_b32_e32 v1, 15, v1
	v_cmp_eq_u32_e32 vcc, 0, v1
	s_orn2_b64 s[14:15], vcc, exec
.LBB2_290:                              ;   in Loop: Header=BB2_224 Depth=1
	s_or_b64 exec, exec, s[36:37]
	s_and_saveexec_b64 s[36:37], s[12:13]
	s_cbranch_execz .LBB2_292
; %bb.291:                              ;   in Loop: Header=BB2_224 Depth=1
	ds_read_b32 v1, v0 offset:784
	s_waitcnt lgkmcnt(0)
	v_and_b32_e32 v1, 15, v1
	v_cmp_eq_u32_e32 vcc, 0, v1
	s_and_b64 vcc, s[14:15], vcc
	s_andn2_b64 s[14:15], s[14:15], exec
	s_and_b64 vcc, vcc, exec
	s_or_b64 s[14:15], s[14:15], vcc
.LBB2_292:                              ;   in Loop: Header=BB2_224 Depth=1
	s_or_b64 exec, exec, s[36:37]
	v_cmp_eq_u32_e32 vcc, 0, v0
	s_xor_b64 s[14:15], s[14:15], -1
	v_accvgpr_write_b32 a28, v38
	v_cndmask_b32_e32 v16, 0, v32, vcc
	v_cndmask_b32_e64 v0, 0, 1, s[14:15]
	v_accvgpr_write_b32 a29, v39
	v_mov_b32_e32 v10, 0
	s_mov_b64 s[38:39], -1
	;;#ASMSTART
	;;#ASMEND
	v_mov_b32_e32 v4, v16
	v_cmp_ne_u32_e32 vcc, 0, v0
	v_mov_b32_e32 v2, v47
	s_cbranch_vccz .LBB2_294
; %bb.293:                              ;   in Loop: Header=BB2_224 Depth=1
	s_and_saveexec_b64 s[36:37], s[38:39]
	s_cbranch_execnz .LBB2_305
	s_branch .LBB2_313
.LBB2_294:                              ;   in Loop: Header=BB2_224 Depth=1
	v_accvgpr_read_b32 v0, a34
	v_accvgpr_read_b32 v1, a35
	v_and_b32_e32 v3, 0x3ff, v16
	v_lshrrev_b32_e32 v1, 10, v16
	v_cmp_lt_u32_e32 vcc, 15, v3
	v_accvgpr_read_b32 v2, a32
	v_sub_u32_e32 v0, v16, v0
	v_addc_co_u32_e64 v42, s[14:15], v1, v2, vcc
	v_cmp_lt_i32_e64 s[14:15], 15, v0
	s_and_saveexec_b64 s[36:37], s[14:15]
	s_cbranch_execz .LBB2_298
; %bb.295:                              ;   in Loop: Header=BB2_224 Depth=1
	s_trap 2
	ds_read_b128 v[4:7], v0
	ds_read_b64 v[8:9], v0
	v_accvgpr_write_b32 a33, v3
	v_accvgpr_read_b32 v2, a34
	v_accvgpr_write_b32 a37, v25
	v_accvgpr_write_b32 a26, v34
	;; [unrolled: 1-line block ×4, first 2 shown]
	v_accvgpr_read_b32 v3, a35
	v_accvgpr_write_b32 a45, v15
	v_accvgpr_write_b32 a47, v29
	;; [unrolled: 1-line block ×15, first 2 shown]
	s_waitcnt lgkmcnt(0)
	v_lshl_add_u64 v[58:59], v[4:5], 0, v[2:3]
	v_lshl_add_u64 v[46:47], v[6:7], 0, v[2:3]
	;; [unrolled: 1-line block ×3, first 2 shown]
	s_mov_b64 s[38:39], 0
	v_accvgpr_write_b32 a46, v28
	v_accvgpr_write_b32 a43, v33
	v_mov_b32_e32 v43, 0xc7600000
.LBB2_296:                              ;   Parent Loop BB2_224 Depth=1
                                        ; =>  This Inner Loop Header: Depth=2
	s_trap 2
	global_load_dwordx4 v[10:13], v[58:59], off nt
	global_load_dwordx4 v[14:17], v[46:47], off nt
	ds_read_b32 v22, v0
	v_mov_b32_e32 v27, 0
	v_mov_b32_e32 v30, 0
	v_mov_b32_e32 v31, 0
	v_mov_b32_e32 v32, 0
	v_mov_b32_e32 v4, 0
	v_mov_b32_e32 v19, 0
	v_mov_b32_e32 v5, 0
	v_mov_b32_e32 v21, 0
	v_mov_b32_e32 v33, 0
	v_mov_b32_e32 v34, 0
	v_mov_b32_e32 v6, 0
	v_mov_b32_e32 v7, 0
	v_mov_b32_e32 v20, 0
	v_mov_b32_e32 v25, 0
	v_mov_b32_e32 v24, 0
	v_mov_b32_e32 v26, 0
	v_mov_b32_e32 v1, 0
	v_mov_b32_e32 v9, 0
	v_mov_b32_e32 v18, 0
	v_mov_b32_e32 v8, 0
	v_mov_b32_e32 v41, 0
	v_accvgpr_read_b32 v44, a44
	v_accvgpr_read_b32 v45, a45
	v_lshl_add_u64 v[58:59], v[58:59], 0, v[44:45]
	v_lshl_add_u64 v[46:47], v[46:47], 0, v[44:45]
	s_waitcnt vmcnt(0)
	v_and_b32_e32 v23, 0xff, v10
	v_lshrrev_b32_e32 v2, 16, v14
	v_accvgpr_write_b32 a48, v2
	v_and_b32_e32 v2, 0xffff, v14
	v_accvgpr_write_b32 a50, v2
	v_lshrrev_b32_e32 v2, 16, v15
	v_accvgpr_write_b32 a49, v2
	v_lshrrev_b32_e32 v2, 16, v16
	;; [unrolled: 2-line block ×3, first 2 shown]
	v_and_b32_e32 v35, 0xffff, v17
	s_waitcnt lgkmcnt(0)
	v_and_b32_e32 v17, 0xff, v22
	v_bfe_u32 v28, v10, 8, 8
	v_lshrrev_b32_e32 v29, 24, v10
	v_bfe_u32 v36, v10, 16, 8
	v_and_b32_e32 v37, 0xff, v11
	v_bfe_u32 v38, v11, 8, 8
	v_lshrrev_b32_e32 v39, 24, v11
	v_bfe_u32 v48, v11, 16, 8
	;; [unrolled: 4-line block ×4, first 2 shown]
	v_cvt_f32_bf8_sdwa v17, v17 src0_sel:BYTE_0
	v_cvt_f32_bf8_sdwa v22, v23 src0_sel:BYTE_0
	;; [unrolled: 1-line block ×17, first 2 shown]
	v_mul_f32_e32 v22, v17, v22
	v_mul_f32_e32 v23, v17, v23
	;; [unrolled: 1-line block ×16, first 2 shown]
	v_med3_f32 v55, v22, s59, v43
	v_cmp_nlg_f32_e64 s[14:15], |v22|, s58
	v_and_b32_e32 v13, 0xffff, v15
	v_accvgpr_write_b32 a52, v2
	v_cndmask_b32_e64 v22, v55, v22, s[14:15]
	v_med3_f32 v55, v23, s59, v43
	v_cmp_nlg_f32_e64 s[14:15], |v23|, s58
	v_cvt_pk_bf8_f32 v4, v22, v22
	v_and_b32_e32 v16, 0xffff, v16
	v_cndmask_b32_e64 v23, v55, v23, s[14:15]
	v_med3_f32 v55, v28, s59, v43
	v_cmp_nlg_f32_e64 s[14:15], |v28|, s58
	v_cvt_pk_bf8_f32 v27, v23, v23
	v_mov_b32_e32 v10, 0
	v_cndmask_b32_e64 v12, v55, v28, s[14:15]
	v_med3_f32 v55, v29, s59, v43
	v_cmp_nlg_f32_e64 s[14:15], |v29|, s58
	v_cvt_pk_bf8_f32 v19, v12, v12
	v_accvgpr_read_b32 v12, a50
	v_cndmask_b32_e64 v29, v55, v29, s[14:15]
	v_med3_f32 v55, v36, s59, v43
	v_cmp_nlg_f32_e64 s[14:15], |v36|, s58
	v_cvt_pk_bf8_f32 v30, v29, v29
	v_mov_b32_e32 v22, 0
	v_cndmask_b32_e64 v55, v55, v36, s[14:15]
	v_med3_f32 v36, v37, s59, v43
	v_cmp_nlg_f32_e64 s[14:15], |v37|, s58
	v_cvt_pk_bf8_f32 v5, v55, v55
	v_mov_b32_e32 v23, 0
	v_cndmask_b32_e64 v40, v36, v37, s[14:15]
	v_med3_f32 v36, v38, s59, v43
	v_cmp_nlg_f32_e64 s[14:15], |v38|, s58
	v_cvt_pk_bf8_f32 v31, v40, v40
	s_nop 0
	v_cndmask_b32_e64 v15, v36, v38, s[14:15]
	v_med3_f32 v36, v39, s59, v43
	v_cmp_nlg_f32_e64 s[14:15], |v39|, s58
	v_cvt_pk_bf8_f32 v21, v15, v15
	s_nop 0
	v_cndmask_b32_e64 v14, v36, v39, s[14:15]
	v_med3_f32 v36, v48, s59, v43
	v_cmp_nlg_f32_e64 s[14:15], |v48|, s58
	v_cvt_pk_bf8_f32 v32, v14, v14
	v_accvgpr_read_b32 v14, a51
	v_cndmask_b32_e64 v11, v36, v48, s[14:15]
	v_med3_f32 v36, v49, s59, v43
	v_cmp_nlg_f32_e64 s[14:15], |v49|, s58
	v_cvt_pk_bf8_f32 v20, v11, v11
	v_accvgpr_read_b32 v11, a52
	v_cndmask_b32_e64 v28, v36, v49, s[14:15]
	v_med3_f32 v36, v50, s59, v43
	v_cmp_nlg_f32_e64 s[14:15], |v50|, s58
	v_cvt_pk_bf8_f32 v33, v28, v28
	v_cvt_pk_f32_bf8_e32 v[48:49], v13
	v_cndmask_b32_e64 v60, v36, v50, s[14:15]
	v_med3_f32 v36, v51, s59, v43
	v_cmp_nlg_f32_e64 s[14:15], |v51|, s58
	v_cvt_pk_bf8_f32 v25, v60, v60
	v_lshlrev_b32_e32 v28, 8, v33
	v_cndmask_b32_e64 v61, v36, v51, s[14:15]
	v_med3_f32 v36, v52, s59, v43
	v_cmp_nlg_f32_e64 s[14:15], |v52|, s58
	v_cvt_pk_bf8_f32 v34, v61, v61
	v_cvt_pk_f32_bf8_e32 v[14:15], v14
	v_cndmask_b32_e64 v3, v36, v52, s[14:15]
	v_med3_f32 v36, v53, s59, v43
	v_cmp_nlg_f32_e64 s[14:15], |v53|, s58
	v_cvt_pk_bf8_f32 v24, v3, v3
	v_lshlrev_b32_e32 v3, 8, v30
	v_cndmask_b32_e64 v62, v36, v53, s[14:15]
	v_med3_f32 v36, v54, s59, v43
	v_cmp_nlg_f32_e64 s[14:15], |v54|, s58
	v_cvt_pk_bf8_f32 v6, v62, v62
	v_cvt_pk_f32_bf8_e32 v[52:53], v11
	v_cndmask_b32_e64 v54, v36, v54, s[14:15]
	v_med3_f32 v36, v17, s59, v43
	v_cmp_nlg_f32_e64 s[14:15], |v17|, s58
	v_cvt_pk_bf8_f32 v26, v54, v54
	v_lshlrev_b32_e32 v11, 8, v31
	v_cndmask_b32_e64 v2, v36, v17, s[14:15]
	v_cvt_pk_bf8_f32 v7, v2, v2
	v_accvgpr_read_b32 v36, a46
	v_accvgpr_read_b32 v37, a47
	v_sub_u32_e32 v42, v42, v36
	v_cvt_pk_f32_bf8_e32 v[36:37], v12
	v_accvgpr_read_b32 v12, a48
	v_lshlrev_b32_e32 v2, 8, v27
	v_lshlrev_b32_e32 v27, 8, v32
	v_accvgpr_read_b32 v17, a43
	v_cvt_pk_f32_bf8_e32 v[38:39], v12
	v_accvgpr_read_b32 v12, a49
	v_lshlrev_b32_e32 v29, 8, v34
	v_lshlrev_b32_e32 v6, 8, v6
	;; [unrolled: 1-line block ×3, first 2 shown]
	v_perm_b32 v3, v3, v19, s61
	v_perm_b32 v2, v2, v4, s61
	;; [unrolled: 1-line block ×4, first 2 shown]
	v_sub_u32_e32 v0, v0, v17
	v_cvt_pk_f32_bf8_e32 v[12:13], v12
	v_cvt_pk_f32_bf8_e32 v[16:17], v16
	v_perm_b32 v29, v29, v25, s61
	v_perm_b32 v27, v28, v20, s61
	;; [unrolled: 1-line block ×4, first 2 shown]
	v_cvt_pk_f32_bf8_e32 v[4:5], v2
	v_cvt_pk_f32_bf8_e32 v[6:7], v3
	;; [unrolled: 1-line block ×8, first 2 shown]
	;;#ASMSTART
	v_pk_add_f32 v[4:5], v[4:5], v[36:37]
	;;#ASMEND
	;;#ASMSTART
	v_pk_add_f32 v[6:7], v[6:7], v[38:39]
	;;#ASMEND
	;; [unrolled: 3-line block ×7, first 2 shown]
	v_cvt_pk_f32_bf8_e32 v[34:35], v28
	v_cvt_pk_bf8_f32 v1, v4, v5
	v_cvt_pk_bf8_f32 v9, v20, v21
	;; [unrolled: 1-line block ×4, first 2 shown]
	;;#ASMSTART
	v_pk_add_f32 v[26:27], v[34:35], v[52:53]
	;;#ASMEND
	v_cvt_pk_bf8_f32 v18, v6, v7
	v_cvt_pk_bf8_f32 v8, v12, v13
	;; [unrolled: 1-line block ×4, first 2 shown]
	v_and_b32_e32 v1, 0xffff, v1
	v_and_b32_e32 v2, 0xffff, v9
	;; [unrolled: 1-line block ×4, first 2 shown]
	v_cmp_gt_i32_e64 s[14:15], 16, v0
	v_lshl_or_b32 v4, v18, 16, v1
	v_lshl_or_b32 v5, v8, 16, v2
	;; [unrolled: 1-line block ×4, first 2 shown]
	s_or_b64 s[38:39], s[14:15], s[38:39]
	global_store_dwordx4 v[56:57], v[4:7], off nt
	v_lshl_add_u64 v[56:57], v[56:57], 0, v[44:45]
	s_andn2_b64 exec, exec, s[38:39]
	s_cbranch_execnz .LBB2_296
; %bb.297:                              ;   in Loop: Header=BB2_224 Depth=1
	s_or_b64 exec, exec, s[38:39]
	v_accvgpr_read_b32 v37, a7
	v_accvgpr_read_b32 v49, a9
	;; [unrolled: 1-line block ×34, first 2 shown]
	v_mov_b32_e32 v21, 0xc7600000
	v_accvgpr_read_b32 v30, a42
	v_accvgpr_read_b32 v32, a21
	;; [unrolled: 1-line block ×4, first 2 shown]
.LBB2_298:                              ;   in Loop: Header=BB2_224 Depth=1
	s_or_b64 exec, exec, s[36:37]
	v_and_b32_e32 v0, 15, v16
	v_cndmask_b32_e32 v4, v3, v0, vcc
	v_cmp_ne_u32_e64 s[14:15], 0, v4
	s_mov_b64 s[38:39], 0
	v_mov_b32_e32 v10, 0
                                        ; implicit-def: $vgpr2
	s_and_saveexec_b64 s[36:37], s[14:15]
	s_cbranch_execz .LBB2_304
; %bb.299:                              ;   in Loop: Header=BB2_224 Depth=1
	v_sub_u32_e32 v0, v3, v0
	v_cndmask_b32_e32 v0, 0, v0, vcc
	v_cmp_lt_i32_e32 vcc, 0, v42
	v_and_or_b32 v10, v16, s62, v0
	v_accvgpr_read_b32 v1, a30
	v_cndmask_b32_e32 v0, 0, v28, vcc
	v_sub_u32_e32 v0, v0, v42
	v_lshl_add_u32 v1, v0, 6, v1
	v_ashrrev_i32_e32 v0, 31, v1
	v_lshrrev_b32_e32 v0, 26, v0
	v_add_u32_e32 v2, v1, v0
	v_ashrrev_i32_e32 v3, 6, v2
	v_and_b32_e32 v2, 0xffffffc0, v2
	v_sub_u32_e32 v2, v1, v2
	v_lshlrev_b32_e32 v1, 4, v2
	v_lshl_add_u32 v1, v3, 10, v1
	v_sub_u32_e32 v42, 0, v3
	v_sub_u32_e32 v3, v4, v1
	v_cmp_lt_i32_e32 vcc, 15, v3
	s_and_saveexec_b64 s[14:15], vcc
	s_cbranch_execz .LBB2_303
; %bb.300:                              ;   in Loop: Header=BB2_224 Depth=1
	v_accvgpr_write_b32 a43, v4
	s_trap 2
	ds_read_b128 v[4:7], v0
	ds_read_b64 v[8:9], v0
	v_accvgpr_write_b32 a33, v10
	v_add_u32_e32 v10, v1, v10
	v_accvgpr_write_b32 a37, v25
	v_accvgpr_write_b32 a26, v34
	;; [unrolled: 1-line block ×4, first 2 shown]
	v_ashrrev_i32_e32 v11, 31, v10
	v_accvgpr_write_b32 a47, v15
	v_accvgpr_write_b32 a49, v29
	;; [unrolled: 1-line block ×16, first 2 shown]
	s_waitcnt lgkmcnt(0)
	v_lshl_add_u64 v[58:59], v[4:5], 0, v[10:11]
	v_lshl_add_u64 v[46:47], v[6:7], 0, v[10:11]
	;; [unrolled: 1-line block ×3, first 2 shown]
	v_accvgpr_write_b32 a48, v28
	v_accvgpr_write_b32 a45, v33
	v_mov_b32_e32 v43, 0xc7600000
.LBB2_301:                              ;   Parent Loop BB2_224 Depth=1
                                        ; =>  This Inner Loop Header: Depth=2
	s_trap 2
	global_load_dwordx4 v[10:13], v[58:59], off nt
	global_load_dwordx4 v[14:17], v[46:47], off nt
	ds_read_b32 v22, v0
	v_mov_b32_e32 v27, 0
	v_mov_b32_e32 v30, 0
	v_mov_b32_e32 v31, 0
	v_mov_b32_e32 v32, 0
	v_mov_b32_e32 v4, 0
	v_mov_b32_e32 v19, 0
	v_mov_b32_e32 v5, 0
	v_mov_b32_e32 v21, 0
	v_mov_b32_e32 v33, 0
	v_mov_b32_e32 v34, 0
	v_mov_b32_e32 v6, 0
	v_mov_b32_e32 v7, 0
	v_mov_b32_e32 v20, 0
	v_mov_b32_e32 v25, 0
	v_mov_b32_e32 v24, 0
	v_mov_b32_e32 v26, 0
	v_mov_b32_e32 v1, 0
	v_mov_b32_e32 v9, 0
	v_mov_b32_e32 v18, 0
	v_mov_b32_e32 v8, 0
	v_mov_b32_e32 v41, 0
	v_accvgpr_read_b32 v44, a46
	v_accvgpr_read_b32 v45, a47
	v_lshl_add_u64 v[58:59], v[58:59], 0, v[44:45]
	v_lshl_add_u64 v[46:47], v[46:47], 0, v[44:45]
	s_waitcnt vmcnt(0)
	v_and_b32_e32 v23, 0xff, v10
	v_lshrrev_b32_e32 v0, 16, v14
	v_accvgpr_write_b32 a50, v0
	v_and_b32_e32 v0, 0xffff, v14
	v_accvgpr_write_b32 a52, v0
	v_lshrrev_b32_e32 v0, 16, v15
	v_accvgpr_write_b32 a51, v0
	v_lshrrev_b32_e32 v0, 16, v16
	;; [unrolled: 2-line block ×3, first 2 shown]
	v_and_b32_e32 v35, 0xffff, v17
	s_waitcnt lgkmcnt(0)
	v_and_b32_e32 v17, 0xff, v22
	v_bfe_u32 v28, v10, 8, 8
	v_lshrrev_b32_e32 v29, 24, v10
	v_bfe_u32 v36, v10, 16, 8
	v_and_b32_e32 v37, 0xff, v11
	v_bfe_u32 v38, v11, 8, 8
	v_lshrrev_b32_e32 v39, 24, v11
	v_bfe_u32 v48, v11, 16, 8
	;; [unrolled: 4-line block ×4, first 2 shown]
	v_cvt_f32_bf8_sdwa v17, v17 src0_sel:BYTE_0
	v_cvt_f32_bf8_sdwa v22, v23 src0_sel:BYTE_0
	;; [unrolled: 1-line block ×17, first 2 shown]
	v_mul_f32_e32 v22, v17, v22
	v_mul_f32_e32 v23, v17, v23
	;; [unrolled: 1-line block ×16, first 2 shown]
	v_med3_f32 v55, v22, s59, v43
	v_cmp_nlg_f32_e64 vcc, |v22|, s58
	v_and_b32_e32 v13, 0xffff, v15
	v_accvgpr_write_b32 a54, v0
	v_cndmask_b32_e32 v22, v55, v22, vcc
	v_med3_f32 v55, v23, s59, v43
	v_cmp_nlg_f32_e64 vcc, |v23|, s58
	v_cvt_pk_bf8_f32 v4, v22, v22
	v_and_b32_e32 v16, 0xffff, v16
	v_cndmask_b32_e32 v23, v55, v23, vcc
	v_med3_f32 v55, v28, s59, v43
	v_cmp_nlg_f32_e64 vcc, |v28|, s58
	v_cvt_pk_bf8_f32 v27, v23, v23
	v_mov_b32_e32 v10, 0
	v_cndmask_b32_e32 v12, v55, v28, vcc
	v_med3_f32 v55, v29, s59, v43
	v_cmp_nlg_f32_e64 vcc, |v29|, s58
	v_cvt_pk_bf8_f32 v19, v12, v12
	v_accvgpr_read_b32 v12, a52
	v_cndmask_b32_e32 v29, v55, v29, vcc
	v_med3_f32 v55, v36, s59, v43
	v_cmp_nlg_f32_e64 vcc, |v36|, s58
	v_cvt_pk_bf8_f32 v30, v29, v29
	v_mov_b32_e32 v22, 0
	v_cndmask_b32_e32 v55, v55, v36, vcc
	v_med3_f32 v36, v37, s59, v43
	v_cmp_nlg_f32_e64 vcc, |v37|, s58
	v_cvt_pk_bf8_f32 v5, v55, v55
	v_mov_b32_e32 v23, 0
	v_cndmask_b32_e32 v40, v36, v37, vcc
	v_med3_f32 v36, v38, s59, v43
	v_cmp_nlg_f32_e64 vcc, |v38|, s58
	v_cvt_pk_bf8_f32 v31, v40, v40
	s_nop 0
	v_cndmask_b32_e32 v15, v36, v38, vcc
	v_med3_f32 v36, v39, s59, v43
	v_cmp_nlg_f32_e64 vcc, |v39|, s58
	v_cvt_pk_bf8_f32 v21, v15, v15
	s_nop 0
	v_cndmask_b32_e32 v14, v36, v39, vcc
	v_med3_f32 v36, v48, s59, v43
	v_cmp_nlg_f32_e64 vcc, |v48|, s58
	v_cvt_pk_bf8_f32 v32, v14, v14
	v_accvgpr_read_b32 v14, a53
	v_cndmask_b32_e32 v11, v36, v48, vcc
	v_med3_f32 v36, v49, s59, v43
	v_cmp_nlg_f32_e64 vcc, |v49|, s58
	v_cvt_pk_bf8_f32 v20, v11, v11
	v_accvgpr_read_b32 v11, a54
	v_cndmask_b32_e32 v28, v36, v49, vcc
	v_med3_f32 v36, v50, s59, v43
	v_cmp_nlg_f32_e64 vcc, |v50|, s58
	v_cvt_pk_bf8_f32 v33, v28, v28
	v_cvt_pk_f32_bf8_e32 v[48:49], v13
	v_cndmask_b32_e32 v60, v36, v50, vcc
	v_med3_f32 v36, v51, s59, v43
	v_cmp_nlg_f32_e64 vcc, |v51|, s58
	v_cvt_pk_bf8_f32 v25, v60, v60
	v_lshlrev_b32_e32 v28, 8, v33
	v_cndmask_b32_e32 v61, v36, v51, vcc
	v_med3_f32 v36, v52, s59, v43
	v_cmp_nlg_f32_e64 vcc, |v52|, s58
	v_cvt_pk_bf8_f32 v34, v61, v61
	v_cvt_pk_f32_bf8_e32 v[14:15], v14
	v_cndmask_b32_e32 v62, v36, v52, vcc
	v_med3_f32 v36, v53, s59, v43
	v_cmp_nlg_f32_e64 vcc, |v53|, s58
	v_cvt_pk_bf8_f32 v24, v62, v62
	v_lshlrev_b32_e32 v29, 8, v34
	v_cndmask_b32_e32 v2, v36, v53, vcc
	v_med3_f32 v36, v54, s59, v43
	v_cmp_nlg_f32_e64 vcc, |v54|, s58
	v_cvt_pk_bf8_f32 v6, v2, v2
	v_cvt_pk_f32_bf8_e32 v[52:53], v11
	v_cndmask_b32_e32 v54, v36, v54, vcc
	v_med3_f32 v36, v17, s59, v43
	v_cmp_nlg_f32_e64 vcc, |v17|, s58
	v_cvt_pk_bf8_f32 v26, v54, v54
	v_lshlrev_b32_e32 v2, 8, v30
	v_cndmask_b32_e32 v0, v36, v17, vcc
	v_cvt_pk_bf8_f32 v7, v0, v0
	v_accvgpr_read_b32 v36, a48
	v_accvgpr_read_b32 v37, a49
	v_sub_u32_e32 v42, v42, v36
	v_cvt_pk_f32_bf8_e32 v[36:37], v12
	v_accvgpr_read_b32 v12, a50
	v_lshlrev_b32_e32 v0, 8, v27
	v_lshlrev_b32_e32 v11, 8, v31
	;; [unrolled: 1-line block ×3, first 2 shown]
	v_accvgpr_read_b32 v17, a45
	v_cvt_pk_f32_bf8_e32 v[38:39], v12
	v_accvgpr_read_b32 v12, a51
	v_lshlrev_b32_e32 v6, 8, v6
	v_lshlrev_b32_e32 v7, 8, v7
	v_perm_b32 v2, v2, v19, s61
	v_perm_b32 v0, v0, v4, s61
	;; [unrolled: 1-line block ×4, first 2 shown]
	v_sub_u32_e32 v3, v3, v17
	v_cvt_pk_f32_bf8_e32 v[12:13], v12
	v_cvt_pk_f32_bf8_e32 v[16:17], v16
	v_perm_b32 v29, v29, v25, s61
	v_perm_b32 v27, v28, v20, s61
	;; [unrolled: 1-line block ×4, first 2 shown]
	v_cvt_pk_f32_bf8_e32 v[4:5], v0
	v_cvt_pk_f32_bf8_e32 v[6:7], v2
	;; [unrolled: 1-line block ×8, first 2 shown]
	;;#ASMSTART
	v_pk_add_f32 v[4:5], v[4:5], v[36:37]
	;;#ASMEND
	;;#ASMSTART
	v_pk_add_f32 v[6:7], v[6:7], v[38:39]
	;;#ASMEND
	;; [unrolled: 3-line block ×7, first 2 shown]
	v_cvt_pk_f32_bf8_e32 v[34:35], v28
	v_cvt_pk_bf8_f32 v1, v4, v5
	v_cvt_pk_bf8_f32 v9, v20, v21
	;; [unrolled: 1-line block ×4, first 2 shown]
	;;#ASMSTART
	v_pk_add_f32 v[26:27], v[34:35], v[52:53]
	;;#ASMEND
	v_cvt_pk_bf8_f32 v18, v6, v7
	v_cvt_pk_bf8_f32 v8, v12, v13
	;; [unrolled: 1-line block ×4, first 2 shown]
	v_and_b32_e32 v0, 0xffff, v1
	v_and_b32_e32 v1, 0xffff, v9
	v_and_b32_e32 v2, 0xffff, v10
	v_and_b32_e32 v7, 0xffff, v22
	v_cmp_gt_i32_e32 vcc, 16, v3
	v_lshl_or_b32 v4, v18, 16, v0
	v_lshl_or_b32 v5, v8, 16, v1
	;; [unrolled: 1-line block ×4, first 2 shown]
	s_or_b64 s[38:39], vcc, s[38:39]
	global_store_dwordx4 v[56:57], v[4:7], off nt
	v_lshl_add_u64 v[56:57], v[56:57], 0, v[44:45]
	s_andn2_b64 exec, exec, s[38:39]
	s_cbranch_execnz .LBB2_301
; %bb.302:                              ;   in Loop: Header=BB2_224 Depth=1
	s_or_b64 exec, exec, s[38:39]
	v_accvgpr_read_b32 v37, a7
	v_accvgpr_read_b32 v49, a9
	;; [unrolled: 1-line block ×34, first 2 shown]
	v_mov_b32_e32 v21, 0xc7600000
	v_accvgpr_read_b32 v30, a42
	v_accvgpr_read_b32 v32, a21
	;; [unrolled: 1-line block ×6, first 2 shown]
.LBB2_303:                              ;   in Loop: Header=BB2_224 Depth=1
	s_or_b64 exec, exec, s[14:15]
	v_cmp_lt_i32_e32 vcc, 0, v42
	s_mov_b64 s[38:39], exec
	s_nop 0
	v_cndmask_b32_e32 v0, 0, v28, vcc
	v_sub_u32_e32 v0, v0, v42
	v_lshl_add_u32 v2, v0, 6, v2
.LBB2_304:                              ;   in Loop: Header=BB2_224 Depth=1
	s_or_b64 exec, exec, s[36:37]
	s_and_saveexec_b64 s[36:37], s[38:39]
	s_cbranch_execz .LBB2_313
.LBB2_305:                              ;   in Loop: Header=BB2_224 Depth=1
	v_ashrrev_i32_e32 v0, 31, v2
	v_lshrrev_b32_e32 v0, 26, v0
	v_add_u32_e32 v0, v2, v0
	v_ashrrev_i32_e32 v5, 6, v0
	v_lshrrev_b32_e32 v1, 9, v4
	v_sub_u32_e32 v39, v1, v5
	v_cmp_lt_i32_e32 vcc, 0, v39
	s_and_saveexec_b64 s[38:39], vcc
	s_cbranch_execz .LBB2_309
; %bb.306:                              ;   in Loop: Header=BB2_224 Depth=1
	v_and_b32_e32 v0, 0xffffffc0, v0
	s_trap 2
	v_accvgpr_write_b32 a49, v2
	v_sub_u32_e32 v6, v2, v0
	ds_read_b128 v[0:3], v0
	v_accvgpr_write_b32 a48, v4
	v_accvgpr_write_b32 a50, v5
	v_lshlrev_b32_e32 v7, 9, v5
	v_add3_u32 v6, v10, v6, v7
	s_waitcnt lgkmcnt(0)
	ds_read_b64 v[4:5], v0
	v_ashrrev_i32_e32 v7, 31, v6
	v_accvgpr_write_b32 a43, v25
	v_accvgpr_write_b32 a37, v15
	;; [unrolled: 1-line block ×6, first 2 shown]
	v_lshl_add_u64 v[10:11], v[0:1], 0, v[6:7]
	s_waitcnt lgkmcnt(0)
	v_lshl_add_u64 v[0:1], v[4:5], 0, s[28:29]
	v_accvgpr_write_b32 a46, v16
	v_accvgpr_write_b32 a45, v33
	;; [unrolled: 1-line block ×14, first 2 shown]
	v_lshl_add_u64 v[12:13], v[2:3], 0, v[6:7]
	v_lshl_add_u64 v[14:15], v[0:1], 0, v[6:7]
	s_mov_b64 s[40:41], 0
	v_mov_b32_e32 v62, 0xc7600000
.LBB2_307:                              ;   Parent Loop BB2_224 Depth=1
                                        ; =>  This Inner Loop Header: Depth=2
	s_trap 2
	flat_load_ubyte v2, v[10:11] nt
	flat_load_ubyte v3, v[10:11] offset:64 nt
	flat_load_ubyte v57, v[12:13] nt
	flat_load_ubyte v56, v[12:13] offset:64 nt
	ds_read_b32 v58, v0
	flat_load_ubyte v50, v[10:11] offset:128 nt
	flat_load_ubyte v51, v[10:11] offset:192 nt
	;; [unrolled: 1-line block ×12, first 2 shown]
	v_add_co_u32_e32 v16, vcc, s63, v14
	s_waitcnt lgkmcnt(0)
	v_and_b32_e32 v22, 0xff, v58
	v_addc_co_u32_e32 v17, vcc, -1, v15, vcc
	v_cvt_f32_bf8_sdwa v60, v22 src0_sel:BYTE_0
	v_add_co_u32_e32 v44, vcc, s64, v14
	v_mov_b32_e32 v24, 0
	s_nop 0
	v_addc_co_u32_e32 v45, vcc, -1, v15, vcc
	v_add_co_u32_e32 v46, vcc, s65, v14
	v_mov_b32_e32 v25, 0
	s_nop 0
	v_addc_co_u32_e32 v47, vcc, -1, v15, vcc
	v_mov_b32_e32 v6, 0
	v_mov_b32_e32 v7, 0
	;; [unrolled: 1-line block ×4, first 2 shown]
	v_lshl_add_u64 v[10:11], v[10:11], 0, v[40:41]
	v_lshl_add_u64 v[12:13], v[12:13], 0, v[40:41]
	v_mov_b32_e32 v61, 0
	v_accvgpr_write_b32 a26, v28
	v_sub_u32_e32 v39, v39, v28
	v_accvgpr_write_b32 a27, v29
	v_mov_b32_e32 v1, 0
	v_mov_b32_e32 v20, 0
	;; [unrolled: 1-line block ×17, first 2 shown]
	v_cmp_gt_i32_e64 s[14:15], 1, v39
	s_or_b64 s[40:41], s[14:15], s[40:41]
	s_waitcnt vmcnt(0)
	v_cvt_f32_bf8_sdwa v2, v2 src0_sel:BYTE_0
	v_cvt_f32_bf8_sdwa v3, v3 src0_sel:BYTE_0
	;; [unrolled: 1-line block ×3, first 2 shown]
	v_mul_f32_e32 v2, v60, v2
	v_mul_f32_e32 v3, v60, v3
	v_med3_f32 v22, v2, s59, v62
	v_cmp_nlg_f32_e64 vcc, |v2|, s58
	v_mul_f32_e32 v0, v60, v0
	v_cvt_pk_f32_bf8_e32 v[40:41], v42
	v_cndmask_b32_e32 v22, v22, v2, vcc
	v_med3_f32 v2, v3, s59, v62
	v_cmp_nlg_f32_e64 vcc, |v3|, s58
	v_cvt_pk_bf8_f32 v24, v22, v22
	v_and_b32_e32 v22, 0xff, v24
	v_cndmask_b32_e32 v23, v2, v3, vcc
	v_cvt_pk_bf8_f32 v25, v23, v23
	v_cvt_pk_f32_bf8_e32 v[2:3], v57
	v_cvt_pk_f32_bf8_e32 v[56:57], v56
	v_and_b32_e32 v23, 0xff, v25
	v_cvt_pk_f32_bf8_e32 v[24:25], v22
	;;#ASMSTART
	v_pk_add_f32 v[58:59], v[24:25], v[2:3]
	;;#ASMEND
	v_cvt_pk_f32_bf8_e32 v[2:3], v23
	;;#ASMSTART
	v_pk_add_f32 v[24:25], v[2:3], v[56:57]
	;;#ASMEND
	v_cvt_f32_bf8_sdwa v2, v50 src0_sel:BYTE_0
	v_cvt_f32_bf8_sdwa v3, v51 src0_sel:BYTE_0
	v_add_co_u32_e32 v56, vcc, 0xffffff00, v14
	v_mul_f32_e32 v2, v60, v2
	s_nop 0
	v_addc_co_u32_e32 v57, vcc, -1, v15, vcc
	v_mul_f32_e32 v3, v60, v3
	v_med3_f32 v22, v2, s59, v62
	v_cmp_nlg_f32_e64 vcc, |v2|, s58
	v_cvt_pk_f32_bf8_e32 v[50:51], v9
	v_cvt_pk_bf8_f32 v20, v58, v58
	v_cndmask_b32_e32 v22, v22, v2, vcc
	v_med3_f32 v2, v3, s59, v62
	v_cmp_nlg_f32_e64 vcc, |v3|, s58
	v_cvt_pk_bf8_f32 v6, v22, v22
	v_cvt_pk_bf8_f32 v49, v24, v24
	v_cndmask_b32_e32 v23, v2, v3, vcc
	v_cvt_pk_bf8_f32 v7, v23, v23
	v_and_b32_e32 v6, 0xff, v6
	v_cvt_pk_f32_bf8_e32 v[2:3], v52
	v_cvt_pk_f32_bf8_e32 v[22:23], v35
	v_and_b32_e32 v9, 0xff, v7
	v_cvt_pk_f32_bf8_e32 v[6:7], v6
	;;#ASMSTART
	v_pk_add_f32 v[6:7], v[6:7], v[2:3]
	;;#ASMEND
	v_cvt_pk_f32_bf8_e32 v[2:3], v9
	v_cvt_f32_bf8_sdwa v7, v48 src0_sel:BYTE_0
	;;#ASMSTART
	v_pk_add_f32 v[50:51], v[2:3], v[50:51]
	;;#ASMEND
	v_add_co_u32_e32 v2, vcc, 0xffffff40, v14
	v_mul_f32_e32 v7, v60, v7
	s_nop 0
	v_addc_co_u32_e32 v3, vcc, -1, v15, vcc
	v_med3_f32 v9, v7, s59, v62
	v_cmp_nlg_f32_e64 vcc, |v7|, s58
	v_cvt_pk_bf8_f32 v55, v6, v6
	v_cvt_pk_bf8_f32 v5, v50, v50
	v_cndmask_b32_e32 v7, v9, v7, vcc
	v_med3_f32 v9, v0, s59, v62
	v_cmp_nlg_f32_e64 vcc, |v0|, s58
	v_cvt_pk_bf8_f32 v30, v7, v7
	v_cvt_f32_i32_e32 v6, v55
	v_cndmask_b32_e32 v0, v9, v0, vcc
	v_cvt_pk_bf8_f32 v31, v0, v0
	v_and_b32_e32 v0, 0xff, v30
	v_cvt_f32_i32_e32 v5, v5
	v_med3_f32 v6, v6, s59, v62
	v_and_b32_e32 v7, 0xff, v31
	v_cvt_pk_f32_bf8_e32 v[30:31], v0
	v_cvt_f32_bf8_sdwa v0, v43 src0_sel:BYTE_0
	;;#ASMSTART
	v_pk_add_f32 v[40:41], v[30:31], v[40:41]
	;;#ASMEND
	v_cvt_pk_f32_bf8_e32 v[30:31], v7
	;;#ASMSTART
	v_pk_add_f32 v[22:23], v[30:31], v[22:23]
	;;#ASMEND
	v_add_co_u32_e32 v30, vcc, 0xffffff80, v14
	v_mul_f32_e32 v0, v60, v0
	s_nop 0
	v_addc_co_u32_e32 v31, vcc, -1, v15, vcc
	v_med3_f32 v7, v0, s59, v62
	v_cmp_nlg_f32_e64 vcc, |v0|, s58
	v_cvt_pk_f32_bf8_e32 v[42:43], v32
	v_cvt_pk_bf8_f32 v34, v40, v40
	v_cndmask_b32_e32 v0, v7, v0, vcc
	v_cvt_pk_bf8_f32 v61, v0, v0
	v_cvt_pk_bf8_f32 v37, v22, v22
	v_accvgpr_read_b32 v41, a39
	v_med3_f32 v5, v5, s59, v62
	v_and_b32_e32 v0, 0xff, v61
	v_cvt_pk_f32_bf8_e32 v[28:29], v0
	v_cvt_f32_bf8_sdwa v0, v27 src0_sel:BYTE_0
	;;#ASMSTART
	v_pk_add_f32 v[28:29], v[28:29], v[42:43]
	;;#ASMEND
	v_add_co_u32_e32 v42, vcc, 0xffffffc0, v14
	v_mul_f32_e32 v0, v60, v0
	s_nop 0
	v_addc_co_u32_e32 v43, vcc, -1, v15, vcc
	v_med3_f32 v7, v0, s59, v62
	v_cmp_nlg_f32_e64 vcc, |v0|, s58
	v_cvt_pk_f32_bf8_e32 v[60:61], v21
	v_cvt_pk_bf8_f32 v8, v28, v28
	v_cndmask_b32_e32 v0, v7, v0, vcc
	v_cvt_pk_bf8_f32 v1, v0, v0
	v_cvt_f32_i32_e32 v7, v34
	v_cvt_f32_i32_e32 v9, v37
	;; [unrolled: 1-line block ×3, first 2 shown]
	v_and_b32_e32 v0, 0xff, v1
	v_cvt_pk_f32_bf8_e32 v[0:1], v0
	;;#ASMSTART
	v_pk_add_f32 v[0:1], v[0:1], v[60:61]
	;;#ASMEND
	v_cvt_pk_bf8_f32 v26, v6, v6
	v_cvt_pk_bf8_f32 v53, v0, v0
	v_cvt_f32_i32_e32 v0, v20
	v_cvt_f32_i32_e32 v1, v49
	v_accvgpr_read_b32 v40, a38
	v_cvt_f32_i32_e32 v20, v53
	v_med3_f32 v0, v0, s59, v62
	v_med3_f32 v1, v1, s59, v62
	v_cvt_pk_bf8_f32 v18, v0, v0
	v_cvt_pk_bf8_f32 v19, v1, v1
	v_accvgpr_read_b32 v29, a27
	v_med3_f32 v7, v7, s59, v62
	v_med3_f32 v9, v9, s59, v62
	;; [unrolled: 1-line block ×4, first 2 shown]
	v_cvt_pk_bf8_f32 v38, v5, v5
	v_accvgpr_read_b32 v28, a26
	v_cvt_pk_bf8_f32 v54, v7, v7
	v_cvt_pk_bf8_f32 v4, v9, v9
	;; [unrolled: 1-line block ×4, first 2 shown]
	flat_store_byte v[16:17], v18 nt
	flat_store_byte v[44:45], v19 nt
	;; [unrolled: 1-line block ×8, first 2 shown]
	v_lshl_add_u64 v[14:15], v[14:15], 0, v[40:41]
	s_andn2_b64 exec, exec, s[40:41]
	s_cbranch_execnz .LBB2_307
; %bb.308:                              ;   in Loop: Header=BB2_224 Depth=1
	s_or_b64 exec, exec, s[40:41]
	v_accvgpr_read_b32 v37, a7
	v_accvgpr_read_b32 v49, a9
	;; [unrolled: 1-line block ×29, first 2 shown]
	v_mov_b32_e32 v21, 0xc7600000
	v_accvgpr_read_b32 v30, a44
	v_accvgpr_read_b32 v32, a33
	;; [unrolled: 1-line block ×8, first 2 shown]
.LBB2_309:                              ;   in Loop: Header=BB2_224 Depth=1
	s_or_b64 exec, exec, s[38:39]
	v_and_b32_e32 v1, 0xfffffe00, v4
	v_cmp_ne_u32_e32 vcc, v4, v1
	s_and_b64 exec, exec, vcc
	s_cbranch_execz .LBB2_313
; %bb.310:                              ;   in Loop: Header=BB2_224 Depth=1
	v_lshlrev_b32_e32 v0, 6, v5
	v_sub_u32_e32 v0, v2, v0
	v_lshlrev_b32_e32 v2, 6, v39
	v_sub_u32_e32 v2, v0, v2
	v_and_b32_e32 v0, 0x1ff, v4
	v_sub_u32_e32 v0, v0, v2
	v_cmp_lt_i32_e32 vcc, 0, v0
	s_and_b64 exec, exec, vcc
	s_cbranch_execz .LBB2_313
; %bb.311:                              ;   in Loop: Header=BB2_224 Depth=1
	s_trap 2
	ds_read_b128 v[4:7], v0
	ds_read_b64 v[8:9], v0
	v_add3_u32 v12, v1, v10, v2
	v_ashrrev_i32_e32 v13, 31, v12
	s_mov_b64 s[14:15], 0
	s_waitcnt lgkmcnt(0)
	v_lshl_add_u64 v[2:3], v[4:5], 0, v[12:13]
	v_lshl_add_u64 v[10:11], v[6:7], 0, v[12:13]
	;; [unrolled: 1-line block ×3, first 2 shown]
.LBB2_312:                              ;   Parent Loop BB2_224 Depth=1
                                        ; =>  This Inner Loop Header: Depth=2
	s_trap 2
	flat_load_ubyte v1, v[2:3] nt
	flat_load_ubyte v4, v[10:11] nt
	ds_read_b32 v5, v0
	v_mov_b32_e32 v6, 0
	v_sub_u32_e32 v0, v0, v18
	v_lshl_add_u64 v[2:3], v[2:3], 0, v[18:19]
	v_lshl_add_u64 v[10:11], v[10:11], 0, v[18:19]
	s_waitcnt lgkmcnt(0)
	v_and_b32_e32 v5, 0xff, v5
	v_cvt_f32_bf8_sdwa v5, v5 src0_sel:BYTE_0
	s_waitcnt vmcnt(0)
	v_cvt_f32_bf8_sdwa v1, v1 src0_sel:BYTE_0
	s_nop 0
	v_mul_f32_e32 v1, v5, v1
	v_med3_f32 v5, v1, s59, v21
	v_cmp_nlg_f32_e64 vcc, |v1|, s58
	s_nop 1
	v_cndmask_b32_e32 v1, v5, v1, vcc
	v_cvt_pk_bf8_f32 v6, v1, v1
	v_cvt_pk_f32_bf8_e32 v[4:5], v4
	v_cmp_gt_i32_e32 vcc, 1, v0
	s_or_b64 s[14:15], vcc, s[14:15]
	v_and_b32_e32 v1, 0xff, v6
	v_cvt_pk_f32_bf8_e32 v[6:7], v1
	v_mov_b32_e32 v1, 0
	;;#ASMSTART
	v_pk_add_f32 v[4:5], v[6:7], v[4:5]
	;;#ASMEND
	s_nop 0
	v_cvt_pk_bf8_f32 v1, v4, v4
	v_mov_b32_e32 v4, 0
	v_cvt_f32_i32_e32 v1, v1
	v_med3_f32 v1, v1, s59, v21
	v_cvt_pk_bf8_f32 v4, v1, v1
	flat_store_byte v[12:13], v4 nt
	v_lshl_add_u64 v[12:13], v[12:13], 0, v[18:19]
	s_andn2_b64 exec, exec, s[14:15]
	s_cbranch_execnz .LBB2_312
.LBB2_313:                              ;   in Loop: Header=BB2_224 Depth=1
	s_or_b64 exec, exec, s[36:37]
	v_accvgpr_read_b32 v39, a29
	v_cmp_ne_u32_e64 s[14:15], 0, v16
	v_accvgpr_read_b32 v38, a28
.LBB2_314:                              ;   in Loop: Header=BB2_224 Depth=1
	s_and_saveexec_b64 s[36:37], s[4:5]
	s_cbranch_execz .LBB2_333
; %bb.315:                              ;   in Loop: Header=BB2_224 Depth=1
	s_and_saveexec_b64 vcc, s[22:23]
	s_xor_b64 s[38:39], exec, vcc
	s_cbranch_execz .LBB2_330
; %bb.316:                              ;   in Loop: Header=BB2_224 Depth=1
	s_and_saveexec_b64 s[40:41], s[6:7]
	s_cbranch_execz .LBB2_329
; %bb.317:                              ;   in Loop: Header=BB2_224 Depth=1
	s_mov_b64 s[46:47], exec
	v_mbcnt_lo_u32_b32 v0, s46, 0
	v_mbcnt_hi_u32_b32 v0, s47, v0
	v_cmp_eq_u32_e32 vcc, 0, v0
	s_waitcnt lgkmcnt(0)
	s_and_saveexec_b64 s[42:43], vcc
	s_cbranch_execz .LBB2_319
; %bb.318:                              ;   in Loop: Header=BB2_224 Depth=1
	s_bcnt1_i32_b64 vcc_lo, s[46:47]
	v_mov_b32_e32 v16, vcc_lo
	ds_add_u64 v0, v[16:17]
	s_trap 2
.LBB2_319:                              ;   in Loop: Header=BB2_224 Depth=1
	s_or_b64 exec, exec, s[42:43]
	s_trap 2
	ds_read_b64 v[0:1], v0
	v_lshl_add_u64 v[34:35], v[34:35], 0, v[28:29]
	s_waitcnt lgkmcnt(0)
	v_cmp_lt_u64_e32 vcc, v[0:1], v[34:35]
	s_and_saveexec_b64 s[42:43], vcc
	s_cbranch_execz .LBB2_328
; %bb.320:                              ;   in Loop: Header=BB2_224 Depth=1
	s_mov_b32 s66, 0
	s_mov_b64 s[46:47], 0
                                        ; implicit-def: $sgpr48_sgpr49
                                        ; implicit-def: $sgpr50_sgpr51
	s_branch .LBB2_322
.LBB2_321:                              ;   in Loop: Header=BB2_322 Depth=2
	s_or_b64 exec, exec, s[54:55]
	s_and_b64 vcc, exec, vcc
	s_or_b64 s[46:47], vcc, s[46:47]
	s_andn2_b64 vcc, s[48:49], exec
	s_and_b64 s[48:49], s[50:51], exec
	s_or_b64 s[48:49], vcc, s[48:49]
	s_andn2_b64 exec, exec, s[46:47]
	s_cbranch_execz .LBB2_326
.LBB2_322:                              ;   Parent Loop BB2_224 Depth=1
                                        ; =>  This Inner Loop Header: Depth=2
	s_add_i32 s66, s66, 1
	s_cmpk_lg_i32 s66, 0x2710
	s_cselect_b64 s[52:53], -1, 0
	s_and_b64 vcc, exec, s[52:53]
                                        ; implicit-def: $sgpr54_sgpr55
	s_cbranch_vccnz .LBB2_324
; %bb.323:                              ;   in Loop: Header=BB2_322 Depth=2
	s_trap 2
	ds_read_b64 v[0:1], v0
	s_andn2_b64 s[52:53], s[52:53], exec
	s_mov_b32 s66, 0
	s_mov_b64 s[54:55], -1
	s_waitcnt vmcnt(0) lgkmcnt(0)
	flat_load_dword v0, v[0:1] sc0 sc1
	s_waitcnt vmcnt(0) lgkmcnt(0)
	buffer_inv sc0 sc1
	v_cmp_eq_u32_e32 vcc, 0, v0
	s_and_b64 vcc, vcc, exec
	s_or_b64 s[52:53], s[52:53], vcc
.LBB2_324:                              ;   in Loop: Header=BB2_322 Depth=2
	s_andn2_b64 s[50:51], s[50:51], exec
	s_and_b64 s[54:55], s[54:55], exec
	s_mov_b64 vcc, -1
	s_or_b64 s[50:51], s[50:51], s[54:55]
	s_and_saveexec_b64 s[54:55], s[52:53]
	s_cbranch_execz .LBB2_321
; %bb.325:                              ;   in Loop: Header=BB2_322 Depth=2
	s_sleep 1
	s_trap 2
	ds_read_b64 v[0:1], v0
	s_andn2_b64 s[50:51], s[50:51], exec
	s_waitcnt lgkmcnt(0)
	v_cmp_ge_u64_e32 vcc, v[0:1], v[34:35]
	s_orn2_b64 vcc, vcc, exec
	s_branch .LBB2_321
.LBB2_326:                              ;   in Loop: Header=BB2_224 Depth=1
	s_or_b64 exec, exec, s[46:47]
	s_and_saveexec_b64 vcc, s[48:49]
	s_xor_b64 vcc, exec, vcc
	s_cbranch_execz .LBB2_328
; %bb.327:                              ;   in Loop: Header=BB2_224 Depth=1
	v_mov_b32_e32 v0, 1
	ds_write_b32 v0, v0
	s_trap 2
.LBB2_328:                              ;   in Loop: Header=BB2_224 Depth=1
	s_or_b64 exec, exec, s[42:43]
	;;#ASMSTART
	s_wakeup
	;;#ASMEND
.LBB2_329:                              ;   in Loop: Header=BB2_224 Depth=1
	s_or_b64 exec, exec, s[40:41]
.LBB2_330:                              ;   in Loop: Header=BB2_224 Depth=1
	s_andn2_saveexec_b64 vcc, s[38:39]
	s_cbranch_execz .LBB2_332
; %bb.331:                              ;   in Loop: Header=BB2_224 Depth=1
	s_waitcnt lgkmcnt(0)
	s_barrier
.LBB2_332:                              ;   in Loop: Header=BB2_224 Depth=1
	s_or_b64 exec, exec, vcc
.LBB2_333:                              ;   in Loop: Header=BB2_224 Depth=1
	s_or_b64 exec, exec, s[36:37]
	v_and_b32_e32 v0, 16, v60
	v_cmp_ne_u32_e32 vcc, 0, v0
	s_and_b64 vcc, vcc, s[14:15]
	s_and_saveexec_b64 s[14:15], vcc
	s_cbranch_execz .LBB2_335
; %bb.334:                              ;   in Loop: Header=BB2_224 Depth=1
	buffer_wbl2 sc1
	s_waitcnt vmcnt(0) lgkmcnt(0)
	buffer_inv sc1
.LBB2_335:                              ;   in Loop: Header=BB2_224 Depth=1
	s_or_b64 exec, exec, s[14:15]
	v_and_b32_e32 v0, 32, v60
	v_cmp_ne_u32_e32 vcc, 0, v0
	s_and_saveexec_b64 s[14:15], vcc
	s_cbranch_execz .LBB2_337
; %bb.336:                              ;   in Loop: Header=BB2_224 Depth=1
	v_lshl_add_u64 v[58:59], v[58:59], 0, 1
	flat_store_dwordx2 v[52:53], v[58:59] sc0 sc1
.LBB2_337:                              ;   in Loop: Header=BB2_224 Depth=1
	s_or_b64 exec, exec, s[14:15]
	v_mov_b32_e32 v0, v32
.LBB2_338:                              ;   in Loop: Header=BB2_224 Depth=1
	s_or_b64 exec, exec, s[34:35]
	s_and_saveexec_b64 s[34:35], s[30:31]
	s_cbranch_execz .LBB2_223
; %bb.339:                              ;   in Loop: Header=BB2_224 Depth=1
	v_and_b32_e32 v1, 4, v60
	v_cmp_ne_u32_e32 vcc, 0, v1
	s_mov_b64 s[30:31], -1
	v_lshl_add_u64 v[10:11], v[58:59], 0, 1
	s_and_saveexec_b64 s[14:15], vcc
	s_cbranch_execnz .LBB2_342
; %bb.340:                              ;   in Loop: Header=BB2_224 Depth=1
	s_or_b64 exec, exec, s[14:15]
	s_xor_b64 s[14:15], s[30:31], -1
	s_and_saveexec_b64 s[30:31], s[14:15]
	s_cbranch_execnz .LBB2_353
.LBB2_341:                              ;   in Loop: Header=BB2_224 Depth=1
	s_or_b64 exec, exec, s[30:31]
	s_and_saveexec_b64 s[14:15], s[4:5]
	s_cbranch_execnz .LBB2_362
	s_branch .LBB2_380
.LBB2_342:                              ;   in Loop: Header=BB2_224 Depth=1
	v_lshl_add_u64 v[12:13], v[58:59], 0, 1
	v_cmp_lt_u64_e32 vcc, v[26:27], v[12:13]
	v_mov_b32_e32 v1, 1
	s_and_saveexec_b64 s[30:31], vcc
	s_cbranch_execz .LBB2_352
; %bb.343:                              ;   in Loop: Header=BB2_224 Depth=1
	s_mov_b64 s[36:37], 0
	v_mov_b32_e32 v1, 0
                                        ; implicit-def: $sgpr38_sgpr39
	s_branch .LBB2_347
.LBB2_344:                              ;   in Loop: Header=BB2_347 Depth=2
	s_or_b64 exec, exec, s[48:49]
	v_mov_b32_e32 v2, 0
	s_orn2_b64 s[46:47], s[46:47], exec
.LBB2_345:                              ;   in Loop: Header=BB2_347 Depth=2
	s_or_b64 exec, exec, s[42:43]
	s_andn2_b64 vcc, s[38:39], exec
	s_and_b64 s[38:39], s[46:47], exec
	s_or_b64 s[38:39], vcc, s[38:39]
	v_mov_b32_e32 v1, v2
.LBB2_346:                              ;   in Loop: Header=BB2_347 Depth=2
	s_or_b64 exec, exec, s[40:41]
	s_waitcnt vmcnt(0) lgkmcnt(0)
	v_cmp_ge_u64_e32 vcc, v[26:27], v[12:13]
	s_xor_b64 s[40:41], s[38:39], -1
	s_or_b64 vcc, s[40:41], vcc
	s_and_b64 vcc, exec, vcc
	s_or_b64 s[36:37], vcc, s[36:37]
	s_andn2_b64 exec, exec, s[36:37]
	s_cbranch_execz .LBB2_351
.LBB2_347:                              ;   Parent Loop BB2_224 Depth=1
                                        ; =>  This Inner Loop Header: Depth=2
	s_sleep 1
	flat_load_dwordx2 v[26:27], v[52:53] sc0 sc1
	v_and_b32_e32 v2, 64, v60
	v_cmp_eq_u32_e32 vcc, 0, v2
	s_andn2_b64 s[38:39], s[38:39], exec
	s_and_saveexec_b64 s[40:41], vcc
	s_cbranch_execz .LBB2_346
; %bb.348:                              ;   in Loop: Header=BB2_347 Depth=2
	v_add_u32_e32 v2, 1, v1
	v_cmp_lt_i32_e32 vcc, s57, v1
	s_mov_b64 s[46:47], -1
	s_and_saveexec_b64 s[42:43], vcc
	s_cbranch_execz .LBB2_345
; %bb.349:                              ;   in Loop: Header=BB2_347 Depth=2
	s_trap 2
	ds_read_b64 v[2:3], v0
	s_waitcnt vmcnt(0) lgkmcnt(0)
	flat_load_dword v1, v[2:3] sc0 sc1
	s_waitcnt vmcnt(0) lgkmcnt(0)
	buffer_inv sc0 sc1
	v_cmp_ne_u32_e32 vcc, 0, v1
	s_and_saveexec_b64 s[48:49], vcc
	s_cbranch_execz .LBB2_344
; %bb.350:                              ;   in Loop: Header=BB2_347 Depth=2
	v_or_b32_e32 v60, 64, v60
	s_xor_b64 s[46:47], exec, -1
	ds_write_b32 v0, v1
	s_trap 2
	s_branch .LBB2_344
.LBB2_351:                              ;   in Loop: Header=BB2_224 Depth=1
	s_or_b64 exec, exec, s[36:37]
	v_and_b32_e32 v1, 4, v60
.LBB2_352:                              ;   in Loop: Header=BB2_224 Depth=1
	s_or_b64 exec, exec, s[30:31]
	v_cmp_eq_u32_e32 vcc, 0, v1
	s_orn2_b64 s[30:31], vcc, exec
	;;#ASMSTART
	s_wakeup
	;;#ASMEND
	s_or_b64 exec, exec, s[14:15]
	s_xor_b64 s[14:15], s[30:31], -1
	s_and_saveexec_b64 s[30:31], s[14:15]
	s_cbranch_execz .LBB2_341
.LBB2_353:                              ;   in Loop: Header=BB2_224 Depth=1
	v_and_b32_e32 v1, 0x100, v60
	v_cmp_ne_u32_e32 vcc, 0, v1
	v_and_b32_e32 v1, 7, v58
	s_mov_b64 s[14:15], -1
                                        ; implicit-def: $vgpr2_vgpr3
	s_and_saveexec_b64 s[36:37], vcc
	s_cbranch_execz .LBB2_357
; %bb.354:                              ;   in Loop: Header=BB2_224 Depth=1
	v_mad_u64_u32 v[8:9], s[14:15], v1, 24, v[56:57]
	flat_load_dword v2, v[8:9]
	s_waitcnt vmcnt(0) lgkmcnt(0)
	v_cmp_ne_u32_e32 vcc, 1, v2
	v_cmp_eq_u32_e64 s[14:15], 1, v2
                                        ; implicit-def: $vgpr2_vgpr3
	s_and_saveexec_b64 s[38:39], s[14:15]
	s_cbranch_execz .LBB2_356
; %bb.355:                              ;   in Loop: Header=BB2_224 Depth=1
	flat_load_dword v2, v[8:9] offset:4 sc0 sc1
	s_waitcnt vmcnt(0) lgkmcnt(0)
	v_ashrrev_i32_e32 v3, 31, v2
.LBB2_356:                              ;   in Loop: Header=BB2_224 Depth=1
	s_or_b64 exec, exec, s[38:39]
	s_orn2_b64 s[14:15], vcc, exec
.LBB2_357:                              ;   in Loop: Header=BB2_224 Depth=1
	s_or_b64 exec, exec, s[36:37]
	s_and_saveexec_b64 vcc, s[14:15]
; %bb.358:                              ;   in Loop: Header=BB2_224 Depth=1
	v_mad_i64_i32 v[2:3], s[14:15], v1, v20, 0
; %bb.359:                              ;   in Loop: Header=BB2_224 Depth=1
	s_or_b64 exec, exec, vcc
	v_and_b32_e32 v1, 0x2000, v60
	v_lshl_add_u64 v[2:3], v[22:23], 0, v[2:3]
	v_cmp_ne_u32_e32 vcc, 0, v1
	ds_write_b64 v0, v[2:3] offset:728
	s_and_saveexec_b64 s[14:15], vcc
	s_cbranch_execz .LBB2_361
; %bb.360:                              ;   in Loop: Header=BB2_224 Depth=1
	ds_read_b64 v[2:3], v0 offset:584
	s_waitcnt lgkmcnt(0)
	v_lshl_add_u64 v[2:3], v[2:3], 0, 1
	ds_write_b64 v0, v[2:3] offset:584
.LBB2_361:                              ;   in Loop: Header=BB2_224 Depth=1
	s_or_b64 exec, exec, s[14:15]
	v_mov_b64_e32 v[58:59], v[10:11]
	s_or_b64 exec, exec, s[30:31]
	s_and_saveexec_b64 s[14:15], s[4:5]
	s_cbranch_execz .LBB2_380
.LBB2_362:                              ;   in Loop: Header=BB2_224 Depth=1
	s_and_saveexec_b64 vcc, s[22:23]
	s_xor_b64 s[30:31], exec, vcc
	s_cbranch_execz .LBB2_377
; %bb.363:                              ;   in Loop: Header=BB2_224 Depth=1
	s_and_saveexec_b64 s[36:37], s[6:7]
	s_cbranch_execz .LBB2_376
; %bb.364:                              ;   in Loop: Header=BB2_224 Depth=1
	s_mov_b64 s[40:41], exec
	v_mbcnt_lo_u32_b32 v1, s40, 0
	v_mbcnt_hi_u32_b32 v1, s41, v1
	v_cmp_eq_u32_e32 vcc, 0, v1
	s_waitcnt lgkmcnt(0)
	s_and_saveexec_b64 s[38:39], vcc
	s_cbranch_execz .LBB2_366
; %bb.365:                              ;   in Loop: Header=BB2_224 Depth=1
	s_bcnt1_i32_b64 vcc_lo, s[40:41]
	v_mov_b32_e32 v16, vcc_lo
	ds_add_u64 v0, v[16:17]
	s_trap 2
.LBB2_366:                              ;   in Loop: Header=BB2_224 Depth=1
	s_or_b64 exec, exec, s[38:39]
	s_trap 2
	ds_read_b64 v[2:3], v0
	v_lshl_add_u64 v[34:35], v[34:35], 0, v[28:29]
	s_waitcnt lgkmcnt(0)
	v_cmp_lt_u64_e32 vcc, v[2:3], v[34:35]
	s_and_saveexec_b64 s[38:39], vcc
	s_cbranch_execz .LBB2_375
; %bb.367:                              ;   in Loop: Header=BB2_224 Depth=1
	s_mov_b32 s52, 0
	s_mov_b64 s[40:41], 0
                                        ; implicit-def: $sgpr42_sgpr43
                                        ; implicit-def: $sgpr46_sgpr47
	s_branch .LBB2_369
.LBB2_368:                              ;   in Loop: Header=BB2_369 Depth=2
	s_or_b64 exec, exec, s[50:51]
	s_and_b64 vcc, exec, vcc
	s_or_b64 s[40:41], vcc, s[40:41]
	s_andn2_b64 vcc, s[42:43], exec
	s_and_b64 s[42:43], s[46:47], exec
	s_or_b64 s[42:43], vcc, s[42:43]
	s_andn2_b64 exec, exec, s[40:41]
	s_cbranch_execz .LBB2_373
.LBB2_369:                              ;   Parent Loop BB2_224 Depth=1
                                        ; =>  This Inner Loop Header: Depth=2
	s_add_i32 s52, s52, 1
	s_cmpk_lg_i32 s52, 0x2710
	s_cselect_b64 s[48:49], -1, 0
	s_and_b64 vcc, exec, s[48:49]
                                        ; implicit-def: $sgpr50_sgpr51
	s_cbranch_vccnz .LBB2_371
; %bb.370:                              ;   in Loop: Header=BB2_369 Depth=2
	s_trap 2
	ds_read_b64 v[2:3], v0
	s_andn2_b64 s[48:49], s[48:49], exec
	s_mov_b32 s52, 0
	s_mov_b64 s[50:51], -1
	s_waitcnt vmcnt(0) lgkmcnt(0)
	flat_load_dword v1, v[2:3] sc0 sc1
	s_waitcnt vmcnt(0) lgkmcnt(0)
	buffer_inv sc0 sc1
	v_cmp_eq_u32_e32 vcc, 0, v1
	s_and_b64 vcc, vcc, exec
	s_or_b64 s[48:49], s[48:49], vcc
.LBB2_371:                              ;   in Loop: Header=BB2_369 Depth=2
	s_andn2_b64 s[46:47], s[46:47], exec
	s_and_b64 s[50:51], s[50:51], exec
	s_mov_b64 vcc, -1
	s_or_b64 s[46:47], s[46:47], s[50:51]
	s_and_saveexec_b64 s[50:51], s[48:49]
	s_cbranch_execz .LBB2_368
; %bb.372:                              ;   in Loop: Header=BB2_369 Depth=2
	s_sleep 1
	s_trap 2
	ds_read_b64 v[2:3], v0
	s_andn2_b64 s[46:47], s[46:47], exec
	s_waitcnt lgkmcnt(0)
	v_cmp_ge_u64_e32 vcc, v[2:3], v[34:35]
	s_orn2_b64 vcc, vcc, exec
	s_branch .LBB2_368
.LBB2_373:                              ;   in Loop: Header=BB2_224 Depth=1
	s_or_b64 exec, exec, s[40:41]
	s_and_saveexec_b64 vcc, s[42:43]
	s_xor_b64 vcc, exec, vcc
	s_cbranch_execz .LBB2_375
; %bb.374:                              ;   in Loop: Header=BB2_224 Depth=1
	v_mov_b32_e32 v1, 1
	ds_write_b32 v0, v1
	s_trap 2
.LBB2_375:                              ;   in Loop: Header=BB2_224 Depth=1
	s_or_b64 exec, exec, s[38:39]
	;;#ASMSTART
	s_wakeup
	;;#ASMEND
.LBB2_376:                              ;   in Loop: Header=BB2_224 Depth=1
	s_or_b64 exec, exec, s[36:37]
.LBB2_377:                              ;   in Loop: Header=BB2_224 Depth=1
	s_andn2_saveexec_b64 vcc, s[30:31]
	s_cbranch_execz .LBB2_379
; %bb.378:                              ;   in Loop: Header=BB2_224 Depth=1
	s_waitcnt lgkmcnt(0)
	s_barrier
.LBB2_379:                              ;   in Loop: Header=BB2_224 Depth=1
	s_or_b64 exec, exec, vcc
.LBB2_380:                              ;   in Loop: Header=BB2_224 Depth=1
	s_or_b64 exec, exec, s[14:15]
	s_trap 2
	ds_read_b32 v1, v0
	v_sub_u32_e32 v0, v30, v0
	v_min_i32_e32 v0, v32, v0
	v_cmp_lt_i32_e32 vcc, 0, v0
	v_and_b32_e32 v0, 16, v60
	s_waitcnt lgkmcnt(0)
	v_readfirstlane_b32 s14, v1
	s_cmp_eq_u32 s14, 0
	s_cselect_b64 s[14:15], -1, 0
	s_and_b64 s[14:15], vcc, s[14:15]
	v_cmp_ne_u32_e32 vcc, 0, v0
	s_and_b64 vcc, vcc, s[14:15]
	s_and_saveexec_b64 s[14:15], vcc
	s_cbranch_execz .LBB2_382
; %bb.381:                              ;   in Loop: Header=BB2_224 Depth=1
	buffer_wbl2 sc1
	s_waitcnt vmcnt(0)
	buffer_inv sc1
.LBB2_382:                              ;   in Loop: Header=BB2_224 Depth=1
	s_or_b64 exec, exec, s[14:15]
	v_and_b32_e32 v0, 32, v60
	v_cmp_ne_u32_e32 vcc, 0, v0
	s_and_saveexec_b64 s[14:15], vcc
	s_cbranch_execz .LBB2_222
; %bb.383:                              ;   in Loop: Header=BB2_224 Depth=1
	v_lshl_add_u64 v[58:59], v[58:59], 0, 1
	flat_store_dwordx2 v[52:53], v[58:59] sc0 sc1
	s_branch .LBB2_222
.LBB2_384:
	s_or_b64 exec, exec, s[24:25]
.LBB2_385:
	s_or_b64 exec, exec, s[18:19]
.LBB2_386:
	s_or_b64 exec, exec, s[16:17]
                                        ; implicit-def: $vgpr48_vgpr49
                                        ; implicit-def: $vgpr36_vgpr37
                                        ; implicit-def: $vgpr28_vgpr29
                                        ; implicit-def: $vgpr20
                                        ; implicit-def: $vgpr26_vgpr27
                                        ; implicit-def: $vgpr22_vgpr23
                                        ; implicit-def: $vgpr52_vgpr53
                                        ; implicit-def: $vgpr47
                                        ; implicit-def: $vgpr15
                                        ; implicit-def: $vgpr38_vgpr39
.LBB2_387:
	s_andn2_saveexec_b64 s[46:47], s[20:21]
	s_cbranch_execz .LBB2_560
; %bb.388:
	s_mov_b64 s[50:51], 0
	v_cmp_ne_u64_e32 vcc, 0, v[36:37]
	v_mov_b64_e32 v[34:35], 0
	s_and_saveexec_b64 s[48:49], vcc
	s_cbranch_execz .LBB2_559
; %bb.389:
	v_accvgpr_read_b32 v0, a2
	v_cmp_ne_u32_sdwa s[52:53], v0, v61 src0_sel:WORD_0 src1_sel:DWORD
	v_accvgpr_read_b32 v0, a1
	v_and_b32_e32 v0, 63, v0
	v_cmp_eq_u32_e64 s[6:7], 0, v0
	v_ashrrev_i32_e32 v0, 31, v47
	v_lshrrev_b32_e32 v0, 26, v0
	v_add_u32_e32 v0, v47, v0
	v_and_b32_e32 v1, 0xffffffc0, v0
	v_ashrrev_i32_e32 v62, 6, v0
	v_sub_u32_e32 v1, v47, v1
	v_lshlrev_b32_e32 v0, 11, v62
	v_lshl_add_u32 v0, v1, 4, v0
	v_cmp_gt_i32_e64 s[10:11], 1, v1
	v_cmp_lt_i32_e64 s[12:13], v1, v15
	v_accvgpr_write_b32 a21, v1
	v_ashrrev_i32_e32 v1, 31, v0
	v_accvgpr_write_b32 a37, v1
	v_lshrrev_b32_e32 v30, 6, v61
	v_accvgpr_write_b32 a36, v0
	v_mov_b32_e32 v0, 0xfffff800
	v_lshl_add_u32 v0, v30, 11, v0
	v_ashrrev_i32_e32 v1, 31, v0
	s_mov_b64 s[14:15], 0x800
	v_lshlrev_b32_e32 v16, 10, v30
	v_lshl_add_u64 v[12:13], v[0:1], 0, s[14:15]
	v_add_u32_e32 v0, 0xfffffc00, v16
	v_ashrrev_i32_e32 v1, 31, v0
	s_mov_b64 s[14:15], 0x400
	s_ashr_i32 s2, s60, 31
	v_mov_b32_e32 v11, 0
	v_lshl_add_u64 v[14:15], v[0:1], 0, s[14:15]
	v_mov_b32_e32 v0, 0xfffffe00
	v_and_b32_e32 v8, 0xffffffc0, v61
	s_lshr_b32 s2, s2, 24
	v_mov_b32_e32 v31, v11
	v_lshl_add_u32 v0, v30, 9, v0
	v_ashrrev_i32_e32 v9, 31, v8
	v_accvgpr_write_b32 a6, v50
	s_add_i32 s60, s60, s2
	v_cmp_eq_u32_e32 vcc, 64, v61
	v_ashrrev_i32_e32 v1, 31, v0
	s_mov_b64 s[14:15], 0x200
	v_mov_b64_e32 v[4:5], 0
	s_waitcnt lgkmcnt(0)
	v_accvgpr_write_b32 a22, v22
	v_accvgpr_write_b32 a31, v29
	;; [unrolled: 1-line block ×6, first 2 shown]
	s_ashr_i32 s66, s60, 8
	v_cmp_ge_i32_e64 s[2:3], v47, v61
	v_cmp_ne_u32_e64 s[4:5], 64, v61
	v_lshl_add_u64 v[50:51], v[0:1], 0, s[14:15]
	v_cmp_ne_u64_e64 s[14:15], 0, v[28:29]
	s_movk_i32 s67, 0x270e
	v_mov_b32_e32 v17, 1
	s_xor_b64 s[54:55], vcc, -1
	s_mov_b32 s68, 0x7f800000
	s_mov_b32 s69, 0x47600000
	;; [unrolled: 1-line block ×3, first 2 shown]
	v_mov_b32_e32 v46, 0xc7600000
	v_mov_b64_e32 v[34:35], v[4:5]
	v_accvgpr_write_b32 a20, v20
	v_accvgpr_write_b32 a23, v23
	;; [unrolled: 1-line block ×7, first 2 shown]
	s_trap 2
	s_branch .LBB2_393
.LBB2_390:                              ;   in Loop: Header=BB2_393 Depth=1
	s_or_b64 exec, exec, s[20:21]
	v_lshl_add_u64 v[58:59], v[58:59], 0, 1
	flat_store_dwordx2 v[52:53], v[58:59] sc0 sc1
.LBB2_391:                              ;   in Loop: Header=BB2_393 Depth=1
	s_or_b64 exec, exec, s[16:17]
.LBB2_392:                              ;   in Loop: Header=BB2_393 Depth=1
	s_or_b64 exec, exec, s[18:19]
	v_lshl_add_u64 v[4:5], v[4:5], 0, v[38:39]
	v_cmp_ge_u64_e32 vcc, v[4:5], v[36:37]
	s_or_b64 s[50:51], vcc, s[50:51]
	s_andn2_b64 exec, exec, s[50:51]
	s_cbranch_execz .LBB2_558
.LBB2_393:                              ; =>This Loop Header: Depth=1
                                        ;     Child Loop BB2_402 Depth 2
                                        ;     Child Loop BB2_426 Depth 2
	;; [unrolled: 1-line block ×10, first 2 shown]
	v_sub_co_u32_e32 v0, vcc, v36, v4
	s_nop 1
	v_subb_co_u32_e32 v1, vcc, v37, v5, vcc
	v_cmp_lt_u64_e32 vcc, v[38:39], v[0:1]
	s_nop 1
	v_cndmask_b32_e64 v7, v1, 0, vcc
	v_cndmask_b32_e32 v6, v0, v38, vcc
	v_add_u32_e32 v0, 15, v6
	v_cmp_eq_u64_e32 vcc, 0, v[6:7]
	v_and_b32_e32 v0, 0x7ffffff0, v0
	s_or_b64 s[56:57], s[2:3], vcc
	v_max_i32_e32 v10, s66, v0
	s_xor_b64 s[16:17], s[56:57], -1
	v_mov_b32_e32 v0, 0
	s_and_saveexec_b64 s[58:59], s[16:17]
	s_cbranch_execz .LBB2_511
; %bb.394:                              ;   in Loop: Header=BB2_393 Depth=1
	s_and_saveexec_b64 s[16:17], s[0:1]
	s_cbranch_execz .LBB2_396
; %bb.395:                              ;   in Loop: Header=BB2_393 Depth=1
	s_trap 2
	ds_read_b64 v[0:1], v0
	v_mov_b32_e32 v2, v11
	v_mov_b32_e32 v3, v11
	s_waitcnt lgkmcnt(0)
	v_lshl_add_u64 v[0:1], v[0:1], 0, v[48:49]
	v_lshl_add_u64 v[0:1], v[0:1], 0, v[4:5]
	ds_write_b64 v0, v[0:1]
	ds_write_b64 v0, v[2:3]
.LBB2_396:                              ;   in Loop: Header=BB2_393 Depth=1
	s_or_b64 exec, exec, s[16:17]
	v_and_b32_e32 v0, 8, v60
	v_cmp_ne_u32_e32 vcc, 0, v0
	s_mov_b64 s[18:19], -1
	v_lshl_add_u64 v[40:41], v[58:59], 0, 1
	s_and_saveexec_b64 s[16:17], vcc
	s_cbranch_execz .LBB2_408
; %bb.397:                              ;   in Loop: Header=BB2_393 Depth=1
	v_lshl_add_u64 v[0:1], v[26:27], 0, 8
	v_lshl_add_u64 v[42:43], v[58:59], 0, 1
	v_cmp_lt_u64_e32 vcc, v[0:1], v[42:43]
	v_mov_b32_e32 v0, 1
	s_and_saveexec_b64 s[18:19], vcc
	s_cbranch_execz .LBB2_407
; %bb.398:                              ;   in Loop: Header=BB2_393 Depth=1
	s_mov_b64 s[20:21], 0
	v_mov_b32_e32 v0, 0
                                        ; implicit-def: $sgpr22_sgpr23
	s_branch .LBB2_402
.LBB2_399:                              ;   in Loop: Header=BB2_402 Depth=2
	s_or_b64 exec, exec, s[30:31]
	v_mov_b32_e32 v1, 0
	s_orn2_b64 s[28:29], s[28:29], exec
.LBB2_400:                              ;   in Loop: Header=BB2_402 Depth=2
	s_or_b64 exec, exec, s[26:27]
	s_andn2_b64 s[22:23], s[22:23], exec
	s_and_b64 s[26:27], s[28:29], exec
	s_or_b64 s[22:23], s[22:23], s[26:27]
	v_mov_b32_e32 v0, v1
.LBB2_401:                              ;   in Loop: Header=BB2_402 Depth=2
	s_or_b64 exec, exec, s[24:25]
	s_waitcnt vmcnt(0) lgkmcnt(0)
	v_lshl_add_u64 v[2:3], v[26:27], 0, 8
	v_cmp_ge_u64_e32 vcc, v[2:3], v[42:43]
	s_xor_b64 s[24:25], s[22:23], -1
	s_or_b64 s[24:25], s[24:25], vcc
	s_and_b64 s[24:25], exec, s[24:25]
	s_or_b64 s[20:21], s[24:25], s[20:21]
	s_andn2_b64 exec, exec, s[20:21]
	s_cbranch_execz .LBB2_406
.LBB2_402:                              ;   Parent Loop BB2_393 Depth=1
                                        ; =>  This Inner Loop Header: Depth=2
	s_sleep 1
	flat_load_dwordx2 v[26:27], v[52:53] sc0 sc1
	v_and_b32_e32 v1, 64, v60
	v_cmp_eq_u32_e32 vcc, 0, v1
	s_andn2_b64 s[22:23], s[22:23], exec
	s_and_saveexec_b64 s[24:25], vcc
	s_cbranch_execz .LBB2_401
; %bb.403:                              ;   in Loop: Header=BB2_402 Depth=2
	v_add_u32_e32 v1, 1, v0
	v_cmp_lt_i32_e32 vcc, s67, v0
	s_mov_b64 s[28:29], -1
	s_and_saveexec_b64 s[26:27], vcc
	s_cbranch_execz .LBB2_400
; %bb.404:                              ;   in Loop: Header=BB2_402 Depth=2
	s_trap 2
	ds_read_b64 v[0:1], v0
	s_waitcnt vmcnt(0) lgkmcnt(0)
	flat_load_dword v0, v[0:1] sc0 sc1
	s_waitcnt vmcnt(0) lgkmcnt(0)
	buffer_inv sc0 sc1
	v_cmp_ne_u32_e32 vcc, 0, v0
	s_and_saveexec_b64 s[30:31], vcc
	s_cbranch_execz .LBB2_399
; %bb.405:                              ;   in Loop: Header=BB2_402 Depth=2
	v_or_b32_e32 v60, 64, v60
	s_xor_b64 s[28:29], exec, -1
	ds_write_b32 v0, v0
	s_trap 2
	s_branch .LBB2_399
.LBB2_406:                              ;   in Loop: Header=BB2_393 Depth=1
	s_or_b64 exec, exec, s[20:21]
	v_and_b32_e32 v0, 8, v60
.LBB2_407:                              ;   in Loop: Header=BB2_393 Depth=1
	s_or_b64 exec, exec, s[18:19]
	v_cmp_eq_u32_e32 vcc, 0, v0
	s_orn2_b64 s[18:19], vcc, exec
	;;#ASMSTART
	s_wakeup
	;;#ASMEND
.LBB2_408:                              ;   in Loop: Header=BB2_393 Depth=1
	s_or_b64 exec, exec, s[16:17]
	s_xor_b64 s[16:17], s[18:19], -1
	v_min_u32_e32 v10, v10, v6
	s_and_saveexec_b64 s[18:19], s[16:17]
	s_cbranch_execz .LBB2_418
; %bb.409:                              ;   in Loop: Header=BB2_393 Depth=1
	v_and_b32_e32 v0, 0x100, v60
	v_cmp_ne_u32_e32 vcc, 0, v0
	v_and_b32_e32 v0, 7, v58
	s_mov_b64 s[16:17], -1
                                        ; implicit-def: $vgpr2_vgpr3
	s_and_saveexec_b64 s[20:21], vcc
	s_cbranch_execz .LBB2_413
; %bb.410:                              ;   in Loop: Header=BB2_393 Depth=1
	v_mad_u64_u32 v[8:9], s[16:17], v0, 24, v[56:57]
	flat_load_dword v1, v[8:9]
                                        ; implicit-def: $vgpr2_vgpr3
	s_waitcnt vmcnt(0) lgkmcnt(0)
	v_cmp_ne_u32_e32 vcc, 1, v1
	v_cmp_eq_u32_e64 s[16:17], 1, v1
	flat_store_dwordx2 v[8:9], v[10:11] offset:8
	s_and_saveexec_b64 s[22:23], s[16:17]
	s_cbranch_execz .LBB2_412
; %bb.411:                              ;   in Loop: Header=BB2_393 Depth=1
	flat_load_dword v2, v[8:9] offset:4 sc0 sc1
	s_waitcnt vmcnt(0) lgkmcnt(0)
	v_ashrrev_i32_e32 v3, 31, v2
.LBB2_412:                              ;   in Loop: Header=BB2_393 Depth=1
	s_or_b64 exec, exec, s[22:23]
	v_accvgpr_read_b32 v8, a44
	s_orn2_b64 s[16:17], vcc, exec
	v_accvgpr_read_b32 v9, a45
.LBB2_413:                              ;   in Loop: Header=BB2_393 Depth=1
	s_or_b64 exec, exec, s[20:21]
	s_and_saveexec_b64 s[20:21], s[16:17]
; %bb.414:                              ;   in Loop: Header=BB2_393 Depth=1
	v_mad_i64_i32 v[2:3], s[16:17], v0, v20, 0
; %bb.415:                              ;   in Loop: Header=BB2_393 Depth=1
	s_or_b64 exec, exec, s[20:21]
	v_lshl_add_u64 v[0:1], v[22:23], 0, v[2:3]
	ds_write_b64 v0, v[0:1] offset:784
	v_and_b32_e32 v0, 0x2000, v60
	v_cmp_ne_u32_e32 vcc, 0, v0
	s_and_saveexec_b64 s[16:17], vcc
	s_cbranch_execz .LBB2_417
; %bb.416:                              ;   in Loop: Header=BB2_393 Depth=1
	ds_read_b64 v[0:1], v0 offset:584
	s_waitcnt lgkmcnt(0)
	v_lshl_add_u64 v[0:1], v[0:1], 0, 1
	ds_write_b64 v0, v[0:1] offset:584
.LBB2_417:                              ;   in Loop: Header=BB2_393 Depth=1
	s_or_b64 exec, exec, s[16:17]
	v_mov_b64_e32 v[58:59], v[40:41]
.LBB2_418:                              ;   in Loop: Header=BB2_393 Depth=1
	s_or_b64 exec, exec, s[18:19]
	s_and_saveexec_b64 s[16:17], s[4:5]
	s_cbranch_execz .LBB2_437
; %bb.419:                              ;   in Loop: Header=BB2_393 Depth=1
	s_and_saveexec_b64 s[18:19], s[52:53]
	s_xor_b64 s[18:19], exec, s[18:19]
	s_cbranch_execz .LBB2_434
; %bb.420:                              ;   in Loop: Header=BB2_393 Depth=1
	s_and_saveexec_b64 s[20:21], s[6:7]
	s_cbranch_execz .LBB2_433
; %bb.421:                              ;   in Loop: Header=BB2_393 Depth=1
	s_mov_b64 s[24:25], exec
	v_mbcnt_lo_u32_b32 v0, s24, 0
	v_mbcnt_hi_u32_b32 v0, s25, v0
	v_cmp_eq_u32_e32 vcc, 0, v0
	s_waitcnt lgkmcnt(0)
	s_and_saveexec_b64 s[22:23], vcc
	s_cbranch_execz .LBB2_423
; %bb.422:                              ;   in Loop: Header=BB2_393 Depth=1
	s_bcnt1_i32_b64 s24, s[24:25]
	v_mov_b32_e32 v0, s24
	v_mov_b32_e32 v1, v11
	ds_add_u64 v0, v[0:1]
	s_trap 2
.LBB2_423:                              ;   in Loop: Header=BB2_393 Depth=1
	s_or_b64 exec, exec, s[22:23]
	s_trap 2
	ds_read_b64 v[0:1], v0
	v_lshl_add_u64 v[34:35], v[34:35], 0, v[30:31]
	s_waitcnt lgkmcnt(0)
	v_cmp_lt_u64_e32 vcc, v[0:1], v[34:35]
	s_and_saveexec_b64 s[22:23], vcc
	s_cbranch_execz .LBB2_432
; %bb.424:                              ;   in Loop: Header=BB2_393 Depth=1
	s_mov_b32 s36, 0
	s_mov_b64 s[24:25], 0
                                        ; implicit-def: $sgpr26_sgpr27
                                        ; implicit-def: $sgpr28_sgpr29
	s_branch .LBB2_426
.LBB2_425:                              ;   in Loop: Header=BB2_426 Depth=2
	s_or_b64 exec, exec, s[34:35]
	s_and_b64 vcc, exec, vcc
	s_or_b64 s[24:25], vcc, s[24:25]
	s_andn2_b64 s[26:27], s[26:27], exec
	s_and_b64 vcc, s[28:29], exec
	s_or_b64 s[26:27], s[26:27], vcc
	s_andn2_b64 exec, exec, s[24:25]
	s_cbranch_execz .LBB2_430
.LBB2_426:                              ;   Parent Loop BB2_393 Depth=1
                                        ; =>  This Inner Loop Header: Depth=2
	s_add_i32 s36, s36, 1
	s_cmpk_lg_i32 s36, 0x2710
	s_cselect_b64 s[30:31], -1, 0
	s_and_b64 vcc, exec, s[30:31]
                                        ; implicit-def: $sgpr34_sgpr35
	s_cbranch_vccnz .LBB2_428
; %bb.427:                              ;   in Loop: Header=BB2_426 Depth=2
	s_trap 2
	ds_read_b64 v[0:1], v0
	s_andn2_b64 s[30:31], s[30:31], exec
	s_mov_b32 s36, 0
	s_mov_b64 s[34:35], -1
	s_waitcnt vmcnt(0) lgkmcnt(0)
	flat_load_dword v0, v[0:1] sc0 sc1
	s_waitcnt vmcnt(0) lgkmcnt(0)
	buffer_inv sc0 sc1
	v_cmp_eq_u32_e32 vcc, 0, v0
	s_and_b64 vcc, vcc, exec
	s_or_b64 s[30:31], s[30:31], vcc
.LBB2_428:                              ;   in Loop: Header=BB2_426 Depth=2
	s_andn2_b64 s[28:29], s[28:29], exec
	s_and_b64 s[34:35], s[34:35], exec
	s_mov_b64 vcc, -1
	s_or_b64 s[28:29], s[28:29], s[34:35]
	s_and_saveexec_b64 s[34:35], s[30:31]
	s_cbranch_execz .LBB2_425
; %bb.429:                              ;   in Loop: Header=BB2_426 Depth=2
	s_sleep 1
	s_trap 2
	ds_read_b64 v[0:1], v0
	s_andn2_b64 s[28:29], s[28:29], exec
	s_waitcnt lgkmcnt(0)
	v_cmp_ge_u64_e32 vcc, v[0:1], v[34:35]
	s_orn2_b64 vcc, vcc, exec
	s_branch .LBB2_425
.LBB2_430:                              ;   in Loop: Header=BB2_393 Depth=1
	s_or_b64 exec, exec, s[24:25]
	s_and_saveexec_b64 s[24:25], s[26:27]
	s_xor_b64 s[24:25], exec, s[24:25]
	s_cbranch_execz .LBB2_432
; %bb.431:                              ;   in Loop: Header=BB2_393 Depth=1
	ds_write_b32 v0, v17
	s_trap 2
.LBB2_432:                              ;   in Loop: Header=BB2_393 Depth=1
	s_or_b64 exec, exec, s[22:23]
	;;#ASMSTART
	s_wakeup
	;;#ASMEND
.LBB2_433:                              ;   in Loop: Header=BB2_393 Depth=1
	s_or_b64 exec, exec, s[20:21]
.LBB2_434:                              ;   in Loop: Header=BB2_393 Depth=1
	s_andn2_saveexec_b64 s[18:19], s[18:19]
	s_cbranch_execz .LBB2_436
; %bb.435:                              ;   in Loop: Header=BB2_393 Depth=1
	s_waitcnt lgkmcnt(0)
	s_barrier
.LBB2_436:                              ;   in Loop: Header=BB2_393 Depth=1
	s_or_b64 exec, exec, s[18:19]
.LBB2_437:                              ;   in Loop: Header=BB2_393 Depth=1
	s_or_b64 exec, exec, s[16:17]
	s_trap 2
	ds_read_b32 v0, v0
	v_and_b32_e32 v1, 0x4000, v60
	v_cmp_ne_u32_e32 vcc, 0, v1
	s_and_b64 s[18:19], s[54:55], vcc
	s_and_saveexec_b64 s[16:17], s[18:19]
	s_cbranch_execz .LBB2_456
; %bb.438:                              ;   in Loop: Header=BB2_393 Depth=1
	s_and_saveexec_b64 s[18:19], s[52:53]
	s_xor_b64 s[18:19], exec, s[18:19]
	s_cbranch_execz .LBB2_453
; %bb.439:                              ;   in Loop: Header=BB2_393 Depth=1
	s_and_saveexec_b64 s[20:21], s[6:7]
	s_cbranch_execz .LBB2_452
; %bb.440:                              ;   in Loop: Header=BB2_393 Depth=1
	s_mov_b64 s[24:25], exec
	v_mbcnt_lo_u32_b32 v1, s24, 0
	v_mbcnt_hi_u32_b32 v1, s25, v1
	v_cmp_eq_u32_e32 vcc, 0, v1
	s_waitcnt lgkmcnt(0)
	s_and_saveexec_b64 s[22:23], vcc
	s_cbranch_execz .LBB2_442
; %bb.441:                              ;   in Loop: Header=BB2_393 Depth=1
	s_bcnt1_i32_b64 s24, s[24:25]
	v_mov_b32_e32 v2, s24
	v_mov_b32_e32 v3, v11
	ds_add_u64 v0, v[2:3]
	s_trap 2
.LBB2_442:                              ;   in Loop: Header=BB2_393 Depth=1
	s_or_b64 exec, exec, s[22:23]
	s_trap 2
	ds_read_b64 v[2:3], v0
	v_lshl_add_u64 v[34:35], v[34:35], 0, v[30:31]
	s_waitcnt lgkmcnt(0)
	v_cmp_lt_u64_e32 vcc, v[2:3], v[34:35]
	s_and_saveexec_b64 s[22:23], vcc
	s_cbranch_execz .LBB2_451
; %bb.443:                              ;   in Loop: Header=BB2_393 Depth=1
	s_mov_b32 s36, 0
	s_mov_b64 s[24:25], 0
                                        ; implicit-def: $sgpr26_sgpr27
                                        ; implicit-def: $sgpr28_sgpr29
	s_branch .LBB2_445
.LBB2_444:                              ;   in Loop: Header=BB2_445 Depth=2
	s_or_b64 exec, exec, s[34:35]
	s_and_b64 vcc, exec, vcc
	s_or_b64 s[24:25], vcc, s[24:25]
	s_andn2_b64 s[26:27], s[26:27], exec
	s_and_b64 vcc, s[28:29], exec
	s_or_b64 s[26:27], s[26:27], vcc
	s_andn2_b64 exec, exec, s[24:25]
	s_cbranch_execz .LBB2_449
.LBB2_445:                              ;   Parent Loop BB2_393 Depth=1
                                        ; =>  This Inner Loop Header: Depth=2
	s_add_i32 s36, s36, 1
	s_cmpk_lg_i32 s36, 0x2710
	s_cselect_b64 s[30:31], -1, 0
	s_and_b64 vcc, exec, s[30:31]
                                        ; implicit-def: $sgpr34_sgpr35
	s_cbranch_vccnz .LBB2_447
; %bb.446:                              ;   in Loop: Header=BB2_445 Depth=2
	s_trap 2
	ds_read_b64 v[2:3], v0
	s_andn2_b64 s[30:31], s[30:31], exec
	s_mov_b32 s36, 0
	s_mov_b64 s[34:35], -1
	s_waitcnt vmcnt(0) lgkmcnt(0)
	flat_load_dword v1, v[2:3] sc0 sc1
	s_waitcnt vmcnt(0) lgkmcnt(0)
	buffer_inv sc0 sc1
	v_cmp_eq_u32_e32 vcc, 0, v1
	s_and_b64 vcc, vcc, exec
	s_or_b64 s[30:31], s[30:31], vcc
.LBB2_447:                              ;   in Loop: Header=BB2_445 Depth=2
	s_andn2_b64 s[28:29], s[28:29], exec
	s_and_b64 s[34:35], s[34:35], exec
	s_mov_b64 vcc, -1
	s_or_b64 s[28:29], s[28:29], s[34:35]
	s_and_saveexec_b64 s[34:35], s[30:31]
	s_cbranch_execz .LBB2_444
; %bb.448:                              ;   in Loop: Header=BB2_445 Depth=2
	s_sleep 1
	s_trap 2
	ds_read_b64 v[2:3], v0
	s_andn2_b64 s[28:29], s[28:29], exec
	s_waitcnt lgkmcnt(0)
	v_cmp_ge_u64_e32 vcc, v[2:3], v[34:35]
	s_orn2_b64 vcc, vcc, exec
	s_branch .LBB2_444
.LBB2_449:                              ;   in Loop: Header=BB2_393 Depth=1
	s_or_b64 exec, exec, s[24:25]
	s_and_saveexec_b64 s[24:25], s[26:27]
	s_xor_b64 s[24:25], exec, s[24:25]
	s_cbranch_execz .LBB2_451
; %bb.450:                              ;   in Loop: Header=BB2_393 Depth=1
	ds_write_b32 v0, v17
	s_trap 2
.LBB2_451:                              ;   in Loop: Header=BB2_393 Depth=1
	s_or_b64 exec, exec, s[22:23]
	;;#ASMSTART
	s_wakeup
	;;#ASMEND
.LBB2_452:                              ;   in Loop: Header=BB2_393 Depth=1
	s_or_b64 exec, exec, s[20:21]
.LBB2_453:                              ;   in Loop: Header=BB2_393 Depth=1
	s_andn2_saveexec_b64 s[18:19], s[18:19]
	s_cbranch_execz .LBB2_455
; %bb.454:                              ;   in Loop: Header=BB2_393 Depth=1
	s_waitcnt lgkmcnt(0)
	s_barrier
.LBB2_455:                              ;   in Loop: Header=BB2_393 Depth=1
	s_or_b64 exec, exec, s[18:19]
.LBB2_456:                              ;   in Loop: Header=BB2_393 Depth=1
	s_or_b64 exec, exec, s[16:17]
	s_trap 2
	s_waitcnt lgkmcnt(0)
	ds_read_b64 v[2:3], v0
	s_waitcnt lgkmcnt(0)
	v_readfirstlane_b32 s16, v2
	v_readfirstlane_b32 s17, v3
	s_cmp_eq_u64 s[16:17], 0
	s_cselect_b64 s[16:17], -1, 0
	s_or_b64 s[18:19], s[16:17], s[16:17]
	s_mov_b64 s[16:17], 0
	s_and_b64 vcc, exec, s[18:19]
	s_cbranch_vccnz .LBB2_485
; %bb.457:                              ;   in Loop: Header=BB2_393 Depth=1
	s_mov_b64 s[18:19], -1
	s_and_saveexec_b64 s[16:17], s[10:11]
	s_cbranch_execz .LBB2_459
; %bb.458:                              ;   in Loop: Header=BB2_393 Depth=1
	ds_read_b32 v1, v0 offset:720
	s_waitcnt lgkmcnt(0)
	v_and_b32_e32 v1, 15, v1
	v_cmp_eq_u32_e32 vcc, 0, v1
	s_orn2_b64 s[18:19], vcc, exec
.LBB2_459:                              ;   in Loop: Header=BB2_393 Depth=1
	s_or_b64 exec, exec, s[16:17]
	s_and_saveexec_b64 s[16:17], s[12:13]
	s_cbranch_execz .LBB2_461
; %bb.460:                              ;   in Loop: Header=BB2_393 Depth=1
	ds_read_b32 v1, v0 offset:784
	s_waitcnt lgkmcnt(0)
	v_and_b32_e32 v1, 15, v1
	v_cmp_eq_u32_e32 vcc, 0, v1
	s_and_b64 s[20:21], s[18:19], vcc
	s_andn2_b64 s[18:19], s[18:19], exec
	s_and_b64 s[20:21], s[20:21], exec
	s_or_b64 s[18:19], s[18:19], s[20:21]
.LBB2_461:                              ;   in Loop: Header=BB2_393 Depth=1
	s_or_b64 exec, exec, s[16:17]
	v_cmp_eq_u32_e32 vcc, 0, v0
	s_xor_b64 s[18:19], s[18:19], -1
	v_accvgpr_write_b32 a47, v5
	v_cndmask_b32_e32 v32, 0, v10, vcc
	v_cndmask_b32_e64 v0, 0, 1, s[18:19]
	v_accvgpr_write_b32 a48, v6
	v_accvgpr_write_b32 a46, v4
	v_mov_b32_e32 v18, 0
	s_mov_b64 s[16:17], -1
	;;#ASMSTART
	;;#ASMEND
	v_mov_b32_e32 v19, v32
	v_cmp_ne_u32_e32 vcc, 0, v0
	v_mov_b32_e32 v21, v47
	v_mov_b32_e32 v5, v62
	s_cbranch_vccz .LBB2_463
; %bb.462:                              ;   in Loop: Header=BB2_393 Depth=1
	s_and_saveexec_b64 s[30:31], s[16:17]
	s_cbranch_execnz .LBB2_476
	s_branch .LBB2_484
.LBB2_463:                              ;   in Loop: Header=BB2_393 Depth=1
	v_lshrrev_b32_e32 v0, 11, v32
	v_sub_u32_e32 v2, v0, v62
	v_cmp_lt_i32_e32 vcc, 0, v2
	s_and_saveexec_b64 s[16:17], vcc
	s_cbranch_execz .LBB2_467
; %bb.464:                              ;   in Loop: Header=BB2_393 Depth=1
	s_trap 2
	ds_read_b32 v0, v0
	v_accvgpr_write_b32 a42, v50
	v_accvgpr_write_b32 a35, v11
	;; [unrolled: 1-line block ×4, first 2 shown]
	s_waitcnt lgkmcnt(0)
	ds_read_b64 a[54:55], v0
	v_and_b32_e32 v0, 0xff, v0
	v_cvt_f32_bf8_sdwa v3, v0 src0_sel:BYTE_0
	v_accvgpr_write_b32 a24, v26
	v_accvgpr_write_b32 a18, v52
	;; [unrolled: 1-line block ×5, first 2 shown]
	v_accvgpr_read_b32 v43, a37
	v_accvgpr_write_b32 a53, v31
	v_accvgpr_write_b32 a51, v13
	;; [unrolled: 1-line block ×18, first 2 shown]
	s_mov_b64 s[18:19], 0
	v_accvgpr_read_b32 v42, a36
	v_accvgpr_write_b32 a52, v30
	v_accvgpr_write_b32 a50, v12
.LBB2_465:                              ;   Parent Loop BB2_393 Depth=1
                                        ; =>  This Inner Loop Header: Depth=2
	s_waitcnt lgkmcnt(0)
	v_accvgpr_read_b32 v0, a54
	v_accvgpr_read_b32 v1, a55
	v_lshl_add_u64 v[44:45], v[0:1], 0, v[42:43]
	global_load_dwordx4 v[4:7], v[44:45], off nt
	global_load_dwordx4 v[32:35], v[44:45], off offset:1024 nt
	v_mov_b32_e32 v25, 0
	v_mov_b32_e32 v56, 0
	v_mov_b32_e32 v0, 0
	v_mov_b32_e32 v21, 0
	v_mov_b32_e32 v19, 0
	v_mov_b32_e32 v58, 0
	v_mov_b32_e32 v59, 0
	v_mov_b32_e32 v60, 0
	v_mov_b32_e32 v61, 0
	v_mov_b32_e32 v14, 0
	v_mov_b32_e32 v24, 0
	v_mov_b32_e32 v57, 0
	v_mov_b32_e32 v47, 0
	v_mov_b32_e32 v18, 0
	s_waitcnt vmcnt(0)
	v_and_b32_e32 v1, 0xff, v4
	v_bfe_u32 v8, v4, 8, 8
	v_and_b32_e32 v28, 0xff, v7
	v_bfe_u32 v29, v7, 8, 8
	v_lshrrev_b32_e32 v62, 24, v7
	v_bfe_u32 v7, v7, 16, 8
	v_cvt_f32_bf8_sdwa v1, v1 src0_sel:BYTE_0
	v_lshrrev_b32_e32 v9, 24, v4
	v_bfe_u32 v4, v4, 16, 8
	v_cvt_f32_bf8_sdwa v8, v8 src0_sel:BYTE_0
	v_cvt_f32_bf8_sdwa v7, v7 src0_sel:BYTE_0
	;; [unrolled: 1-line block ×4, first 2 shown]
	v_and_b32_e32 v15, 0xff, v5
	v_cvt_f32_bf8_sdwa v9, v9 src0_sel:BYTE_0
	v_bfe_u32 v20, v5, 8, 8
	v_cvt_f32_bf8_sdwa v15, v15 src0_sel:BYTE_0
	v_mul_f32_e32 v1, v3, v1
	v_lshrrev_b32_e32 v22, 24, v5
	v_bfe_u32 v5, v5, 16, 8
	v_cvt_f32_bf8_sdwa v20, v20 src0_sel:BYTE_0
	v_mul_f32_e32 v8, v3, v8
	v_mul_f32_e32 v48, v3, v7
	v_med3_f32 v7, v1, s69, v46
	v_cmp_nlg_f32_e64 vcc, |v1|, s68
	v_cvt_f32_bf8_sdwa v5, v5 src0_sel:BYTE_0
	v_mul_f32_e32 v4, v3, v4
	v_mul_f32_e32 v49, v3, v62
	v_cndmask_b32_e32 v62, v7, v1, vcc
	v_med3_f32 v1, v8, s69, v46
	v_cmp_nlg_f32_e64 vcc, |v8|, s68
	v_and_b32_e32 v23, 0xff, v6
	v_cvt_f32_bf8_sdwa v22, v22 src0_sel:BYTE_0
	v_mul_f32_e32 v9, v3, v9
	v_cndmask_b32_e32 v10, v1, v8, vcc
	v_med3_f32 v1, v4, s69, v46
	v_cmp_nlg_f32_e64 vcc, |v4|, s68
	v_bfe_u32 v26, v6, 8, 8
	v_cvt_f32_bf8_sdwa v23, v23 src0_sel:BYTE_0
	v_mul_f32_e32 v15, v3, v15
	v_cndmask_b32_e32 v11, v1, v4, vcc
	v_med3_f32 v1, v9, s69, v46
	v_cmp_nlg_f32_e64 vcc, |v9|, s68
	v_lshrrev_b32_e32 v27, 24, v6
	v_bfe_u32 v6, v6, 16, 8
	v_cvt_f32_bf8_sdwa v26, v26 src0_sel:BYTE_0
	v_mul_f32_e32 v20, v3, v20
	v_cndmask_b32_e32 v12, v1, v9, vcc
	v_med3_f32 v1, v15, s69, v46
	v_cmp_nlg_f32_e64 vcc, |v15|, s68
	v_cvt_f32_bf8_sdwa v6, v6 src0_sel:BYTE_0
	v_mul_f32_e32 v5, v3, v5
	v_cndmask_b32_e32 v13, v1, v15, vcc
	v_med3_f32 v1, v20, s69, v46
	v_cmp_nlg_f32_e64 vcc, |v20|, s68
	;; [unrolled: 5-line block ×5, first 2 shown]
	v_mul_f32_e32 v6, v3, v6
	v_and_b32_e32 v30, 0xff, v32
	v_cndmask_b32_e32 v23, v1, v23, vcc
	v_med3_f32 v1, v26, s69, v46
	v_cmp_nlg_f32_e64 vcc, |v26|, s68
	v_mul_f32_e32 v27, v3, v27
	v_bfe_u32 v37, v32, 8, 8
	v_cndmask_b32_e32 v52, v1, v26, vcc
	v_med3_f32 v1, v6, s69, v46
	v_cmp_nlg_f32_e64 vcc, |v6|, s68
	v_cvt_f32_bf8_sdwa v30, v30 src0_sel:BYTE_0
	v_mul_f32_e32 v28, v3, v28
	v_cndmask_b32_e32 v53, v1, v6, vcc
	v_med3_f32 v1, v27, s69, v46
	v_cmp_nlg_f32_e64 vcc, |v27|, s68
	v_lshrrev_b32_e32 v31, 24, v32
	v_bfe_u32 v32, v32, 16, 8
	v_cvt_f32_bf8_sdwa v37, v37 src0_sel:BYTE_0
	v_mul_f32_e32 v29, v3, v29
	v_cndmask_b32_e32 v5, v1, v27, vcc
	v_med3_f32 v1, v28, s69, v46
	v_cmp_nlg_f32_e64 vcc, |v28|, s68
	v_cvt_f32_bf8_sdwa v32, v32 src0_sel:BYTE_0
	v_and_b32_e32 v36, 0xff, v33
	v_cndmask_b32_e32 v6, v1, v28, vcc
	v_med3_f32 v1, v29, s69, v46
	v_cmp_nlg_f32_e64 vcc, |v29|, s68
	v_cvt_f32_bf8_sdwa v31, v31 src0_sel:BYTE_0
	v_bfe_u32 v38, v33, 8, 8
	v_cndmask_b32_e32 v7, v1, v29, vcc
	v_med3_f32 v1, v48, s69, v46
	v_cmp_nlg_f32_e64 vcc, |v48|, s68
	v_cvt_f32_bf8_sdwa v36, v36 src0_sel:BYTE_0
	v_mul_f32_e32 v30, v3, v30
	v_cndmask_b32_e32 v8, v1, v48, vcc
	v_med3_f32 v1, v49, s69, v46
	v_cmp_nlg_f32_e64 vcc, |v49|, s68
	v_lshrrev_b32_e32 v39, 24, v33
	v_bfe_u32 v33, v33, 16, 8
	v_cvt_f32_bf8_sdwa v38, v38 src0_sel:BYTE_0
	v_mul_f32_e32 v37, v3, v37
	v_cndmask_b32_e32 v9, v1, v49, vcc
	v_med3_f32 v1, v30, s69, v46
	v_cmp_nlg_f32_e64 vcc, |v30|, s68
	v_cvt_f32_bf8_sdwa v33, v33 src0_sel:BYTE_0
	v_mul_f32_e32 v32, v3, v32
	v_cndmask_b32_e32 v15, v1, v30, vcc
	v_med3_f32 v1, v37, s69, v46
	v_cmp_nlg_f32_e64 vcc, |v37|, s68
	v_and_b32_e32 v50, 0xff, v34
	v_cvt_f32_bf8_sdwa v39, v39 src0_sel:BYTE_0
	v_mul_f32_e32 v31, v3, v31
	v_cndmask_b32_e32 v1, v1, v37, vcc
	v_med3_f32 v4, v32, s69, v46
	v_cmp_nlg_f32_e64 vcc, |v32|, s68
	v_bfe_u32 v51, v34, 8, 8
	v_cvt_f32_bf8_sdwa v50, v50 src0_sel:BYTE_0
	v_mul_f32_e32 v36, v3, v36
	v_cndmask_b32_e32 v4, v4, v32, vcc
	v_med3_f32 v20, v31, s69, v46
	v_cmp_nlg_f32_e64 vcc, |v31|, s68
	v_lshrrev_b32_e32 v55, 24, v34
	v_bfe_u32 v34, v34, 16, 8
	v_cvt_f32_bf8_sdwa v51, v51 src0_sel:BYTE_0
	v_mul_f32_e32 v38, v3, v38
	v_cndmask_b32_e32 v20, v20, v31, vcc
	v_med3_f32 v26, v36, s69, v46
	v_cmp_nlg_f32_e64 vcc, |v36|, s68
	v_cvt_f32_bf8_sdwa v34, v34 src0_sel:BYTE_0
	v_mul_f32_e32 v33, v3, v33
	v_cndmask_b32_e32 v27, v26, v36, vcc
	v_med3_f32 v26, v38, s69, v46
	v_cmp_nlg_f32_e64 vcc, |v38|, s68
	v_and_b32_e32 v16, 0xff, v35
	v_cvt_f32_bf8_sdwa v55, v55 src0_sel:BYTE_0
	v_mul_f32_e32 v39, v3, v39
	v_cndmask_b32_e32 v28, v26, v38, vcc
	v_med3_f32 v26, v33, s69, v46
	v_cmp_nlg_f32_e64 vcc, |v33|, s68
	v_bfe_u32 v17, v35, 8, 8
	v_cvt_f32_bf8_sdwa v16, v16 src0_sel:BYTE_0
	v_mul_f32_e32 v50, v3, v50
	v_cndmask_b32_e32 v29, v26, v33, vcc
	v_med3_f32 v26, v39, s69, v46
	v_cmp_nlg_f32_e64 vcc, |v39|, s68
	v_lshrrev_b32_e32 v54, 24, v35
	v_bfe_u32 v35, v35, 16, 8
	v_cvt_f32_bf8_sdwa v17, v17 src0_sel:BYTE_0
	v_mul_f32_e32 v51, v3, v51
	v_cndmask_b32_e32 v30, v26, v39, vcc
	v_med3_f32 v26, v50, s69, v46
	v_cmp_nlg_f32_e64 vcc, |v50|, s68
	v_cvt_f32_bf8_sdwa v35, v35 src0_sel:BYTE_0
	v_mul_f32_e32 v34, v3, v34
	v_cndmask_b32_e32 v31, v26, v50, vcc
	v_med3_f32 v26, v51, s69, v46
	v_cmp_nlg_f32_e64 vcc, |v51|, s68
	;; [unrolled: 5-line block ×3, first 2 shown]
	v_mul_f32_e32 v16, v3, v16
	v_mul_f32_e32 v17, v3, v17
	v_cndmask_b32_e32 v33, v26, v34, vcc
	v_med3_f32 v26, v55, s69, v46
	v_cmp_nlg_f32_e64 vcc, |v55|, s68
	v_mul_f32_e32 v35, v3, v35
	v_mul_f32_e32 v54, v3, v54
	v_cndmask_b32_e32 v34, v26, v55, vcc
	v_med3_f32 v26, v16, s69, v46
	v_cmp_nlg_f32_e64 vcc, |v16|, s68
	v_mov_b32_e32 v37, 0
	v_mov_b32_e32 v38, 0
	v_cndmask_b32_e32 v16, v26, v16, vcc
	v_med3_f32 v26, v17, s69, v46
	v_cmp_nlg_f32_e64 vcc, |v17|, s68
	v_cvt_pk_bf8_f32 v25, v10, v10
	v_cvt_pk_bf8_f32 v56, v11, v11
	v_cndmask_b32_e32 v17, v26, v17, vcc
	v_med3_f32 v26, v35, s69, v46
	v_cmp_nlg_f32_e64 vcc, |v35|, s68
	v_mov_b32_e32 v10, 0
	v_mov_b32_e32 v11, 0
	v_cndmask_b32_e32 v35, v26, v35, vcc
	v_med3_f32 v26, v54, s69, v46
	v_cmp_nlg_f32_e64 vcc, |v54|, s68
	v_cvt_pk_bf8_f32 v0, v40, v40
	v_cvt_pk_bf8_f32 v21, v41, v41
	v_cndmask_b32_e32 v36, v26, v54, vcc
	v_mov_b32_e32 v26, 0
	v_mov_b32_e32 v39, 0
	v_cvt_pk_bf8_f32 v19, v22, v22
	v_mov_b32_e32 v22, 0
	v_cvt_pk_bf8_f32 v58, v52, v52
	v_cvt_pk_bf8_f32 v59, v53, v53
	v_mov_b32_e32 v49, 0
	v_cvt_pk_bf8_f32 v60, v5, v5
	v_mov_b32_e32 v5, 0
	;; [unrolled: 2-line block ×3, first 2 shown]
	v_cvt_pk_bf8_f32 v14, v7, v7
	v_cvt_pk_bf8_f32 v37, v8, v8
	v_mov_b32_e32 v8, 0
	v_cvt_pk_bf8_f32 v38, v9, v9
	v_mov_b32_e32 v9, 0
	v_cvt_pk_bf8_f32 v26, v15, v15
	v_mov_b32_e32 v15, 0
	v_cvt_pk_bf8_f32 v24, v62, v62
	v_cvt_pk_bf8_f32 v57, v12, v12
	;; [unrolled: 1-line block ×3, first 2 shown]
	v_mov_b32_e32 v12, 0
	v_mov_b32_e32 v13, 0
	v_cvt_pk_bf8_f32 v18, v23, v23
	v_mov_b32_e32 v23, 0
	v_mov_b32_e32 v48, 0
	;; [unrolled: 1-line block ×3, first 2 shown]
	v_cvt_pk_bf8_f32 v10, v1, v1
	v_cvt_pk_bf8_f32 v11, v4, v4
	v_cvt_pk_bf8_f32 v39, v28, v28
	v_cvt_pk_bf8_f32 v22, v29, v29
	v_cvt_pk_bf8_f32 v49, v32, v32
	v_cvt_pk_bf8_f32 v5, v33, v33
	v_cvt_pk_bf8_f32 v6, v34, v34
	v_cvt_pk_bf8_f32 v8, v17, v17
	v_cvt_pk_bf8_f32 v9, v35, v35
	v_cvt_pk_bf8_f32 v15, v36, v36
	v_accvgpr_read_b32 v50, a52
	v_cvt_pk_bf8_f32 v12, v20, v20
	v_cvt_pk_bf8_f32 v13, v27, v27
	;; [unrolled: 1-line block ×5, first 2 shown]
	v_accvgpr_read_b32 v51, a53
	v_sub_u32_e32 v2, v2, v50
	v_accvgpr_read_b32 v50, a50
	v_lshlrev_b32_e32 v1, 8, v25
	v_and_b32_e32 v4, 0xff, v56
	v_lshlrev_b32_e32 v0, 8, v0
	v_and_b32_e32 v17, 0xff, v21
	;; [unrolled: 2-line block ×4, first 2 shown]
	v_accvgpr_read_b32 v51, a51
	v_cmp_gt_i32_e32 vcc, 1, v2
	v_lshlrev_b32_e32 v16, 24, v57
	v_lshlrev_b32_e32 v19, 24, v19
	;; [unrolled: 1-line block ×5, first 2 shown]
	v_and_b32_e32 v11, 0xff, v11
	v_lshlrev_b32_e32 v29, 8, v39
	v_and_b32_e32 v22, 0xff, v22
	v_lshlrev_b32_e32 v30, 8, v49
	;; [unrolled: 2-line block ×3, first 2 shown]
	v_lshlrev_b32_e32 v6, 8, v8
	v_and_b32_e32 v8, 0xff, v9
	v_lshlrev_b32_e32 v9, 24, v15
	v_lshlrev_b32_e32 v4, 16, v4
	v_perm_b32 v1, v1, v24, s70
	v_lshlrev_b32_e32 v15, 16, v17
	v_perm_b32 v0, v0, v47, s70
	;; [unrolled: 2-line block ×4, first 2 shown]
	v_lshl_add_u64 v[42:43], v[42:43], 0, v[50:51]
	s_or_b64 s[18:19], vcc, s[18:19]
	v_lshlrev_b32_e32 v12, 24, v12
	v_lshlrev_b32_e32 v23, 24, v23
	v_lshlrev_b32_e32 v11, 16, v11
	v_perm_b32 v10, v10, v26, s70
	v_lshlrev_b32_e32 v21, 16, v22
	v_perm_b32 v13, v29, v13, s70
	v_lshlrev_b32_e32 v22, 16, v5
	;; [unrolled: 2-line block ×3, first 2 shown]
	v_perm_b32 v26, v6, v7, s70
	v_or3_b32 v4, v16, v4, v1
	v_or3_b32 v5, v19, v15, v0
	;; [unrolled: 1-line block ×8, first 2 shown]
	global_store_dwordx4 v[44:45], v[4:7], off nt
	global_store_dwordx4 v[44:45], v[18:21], off offset:1024 nt
	s_andn2_b64 exec, exec, s[18:19]
	s_cbranch_execnz .LBB2_465
; %bb.466:                              ;   in Loop: Header=BB2_393 Depth=1
	s_or_b64 exec, exec, s[18:19]
	v_accvgpr_read_b32 v37, a7
	v_accvgpr_read_b32 v36, a6
	;; [unrolled: 1-line block ×3, first 2 shown]
	v_accvgpr_mov_b32 a6, a12
	v_accvgpr_read_b32 v59, a17
	v_accvgpr_read_b32 v53, a19
	;; [unrolled: 1-line block ×17, first 2 shown]
	v_accvgpr_mov_b32 a7, a13
	v_accvgpr_read_b32 v58, a16
	v_accvgpr_read_b32 v57, a15
	;; [unrolled: 1-line block ×18, first 2 shown]
	v_mov_b32_e32 v17, 1
	v_accvgpr_read_b32 v32, a39
.LBB2_467:                              ;   in Loop: Header=BB2_393 Depth=1
	s_or_b64 exec, exec, s[16:17]
	v_and_b32_e32 v1, 0x3ffff800, v32
	v_cmp_ne_u32_e32 vcc, v1, v32
	s_mov_b64 s[16:17], 0
	v_mov_b32_e32 v18, 0
                                        ; implicit-def: $vgpr19
                                        ; implicit-def: $vgpr21
                                        ; implicit-def: $vgpr5
	s_and_saveexec_b64 s[60:61], vcc
	s_cbranch_execz .LBB2_475
; %bb.468:                              ;   in Loop: Header=BB2_393 Depth=1
	v_lshlrev_b32_e32 v0, 6, v2
	v_accvgpr_read_b32 v2, a21
	v_sub_u32_e32 v0, v2, v0
	v_ashrrev_i32_e32 v2, 31, v0
	v_lshrrev_b32_e32 v2, 26, v2
	v_add_u32_e32 v2, v0, v2
	v_ashrrev_i32_e32 v5, 6, v2
	v_and_b32_e32 v2, 0xffffffc0, v2
	v_sub_u32_e32 v0, v0, v2
	v_lshlrev_b32_e32 v2, 4, v0
	v_and_b32_e32 v3, 0x7ff, v32
	v_lshl_add_u32 v4, v5, 10, v2
	v_and_b32_e32 v6, 0x400, v32
	v_sub_u32_e32 v18, v3, v4
	v_sub_u32_e32 v3, v3, v6
	v_bfe_u32 v2, v32, 10, 1
	v_cmp_lt_i32_e32 vcc, 15, v3
	s_nop 1
	v_addc_co_u32_e64 v2, s[16:17], 0, v2, vcc
	v_sub_u32_e32 v2, v2, v5
	v_cmp_lt_i32_e64 s[16:17], 15, v18
	s_and_saveexec_b64 s[62:63], s[16:17]
	s_cbranch_execz .LBB2_472
; %bb.469:                              ;   in Loop: Header=BB2_393 Depth=1
	s_trap 2
	ds_read_b32 v5, v0
	ds_read_b64 a[50:51], v0
	v_accvgpr_write_b32 a42, v50
	v_accvgpr_write_b32 a35, v13
	;; [unrolled: 1-line block ×3, first 2 shown]
	s_waitcnt lgkmcnt(0)
	v_and_b32_e32 v5, 0xff, v5
	v_cvt_f32_bf8_sdwa v19, v5 src0_sel:BYTE_0
	v_accvgpr_write_b32 a26, v38
	v_accvgpr_write_b32 a24, v34
	;; [unrolled: 1-line block ×7, first 2 shown]
	v_add_u32_e32 v42, v4, v1
	v_accvgpr_write_b32 a3, v32
	v_accvgpr_write_b32 a43, v51
	;; [unrolled: 1-line block ×14, first 2 shown]
	v_ashrrev_i32_e32 v43, 31, v42
	s_mov_b64 s[64:65], 0
	v_mov_b64_e32 v[40:41], v[14:15]
.LBB2_470:                              ;   Parent Loop BB2_393 Depth=1
                                        ; =>  This Inner Loop Header: Depth=2
	v_accvgpr_read_b32 v4, a50
	v_accvgpr_read_b32 v5, a51
	v_lshl_add_u64 v[44:45], v[4:5], 0, v[42:43]
	global_load_dwordx4 v[56:59], v[44:45], off nt
	v_sub_u32_e32 v18, v18, v16
	v_sub_u32_e32 v2, v2, v30
	v_cmp_gt_i32_e64 s[16:17], 16, v18
	v_mov_b32_e32 v14, 0
	v_mov_b32_e32 v15, 0
	;; [unrolled: 1-line block ×8, first 2 shown]
	s_or_b64 s[64:65], s[16:17], s[64:65]
	v_mov_b32_e32 v21, 0
	v_mov_b32_e32 v20, 0
	;; [unrolled: 1-line block ×8, first 2 shown]
	v_lshl_add_u64 v[42:43], v[42:43], 0, v[40:41]
	s_waitcnt vmcnt(0)
	v_and_b32_e32 v10, 0xff, v56
	v_bfe_u32 v11, v56, 8, 8
	v_bfe_u32 v13, v56, 16, 8
	;; [unrolled: 1-line block ×8, first 2 shown]
	v_cvt_f32_bf8_sdwa v10, v10 src0_sel:BYTE_0
	v_cvt_f32_bf8_sdwa v11, v11 src0_sel:BYTE_0
	v_lshrrev_b32_e32 v12, 24, v56
	v_and_b32_e32 v16, 0xff, v57
	v_lshrrev_b32_e32 v22, 24, v57
	v_and_b32_e32 v28, 0xff, v58
	;; [unrolled: 2-line block ×3, first 2 shown]
	v_lshrrev_b32_e32 v35, 24, v59
	v_cvt_f32_bf8_sdwa v13, v13 src0_sel:BYTE_0
	v_cvt_f32_bf8_sdwa v17, v17 src0_sel:BYTE_0
	;; [unrolled: 1-line block ×14, first 2 shown]
	v_mul_f32_e32 v10, v19, v10
	v_mul_f32_e32 v11, v19, v11
	;; [unrolled: 1-line block ×9, first 2 shown]
	v_med3_f32 v37, v10, s69, v46
	v_med3_f32 v38, v11, s69, v46
	v_cmp_nlg_f32_e64 s[36:37], |v10|, s68
	v_cmp_nlg_f32_e64 s[38:39], |v11|, s68
	v_mul_f32_e32 v12, v19, v12
	v_mul_f32_e32 v16, v19, v16
	;; [unrolled: 1-line block ×7, first 2 shown]
	v_med3_f32 v39, v13, s69, v46
	v_med3_f32 v50, v17, s69, v46
	v_cmp_nlg_f32_e64 s[18:19], |v17|, s68
	v_med3_f32 v51, v23, s69, v46
	v_cmp_nlg_f32_e64 s[20:21], |v23|, s68
	;; [unrolled: 2-line block ×4, first 2 shown]
	v_cndmask_b32_e64 v10, v37, v10, s[36:37]
	v_med3_f32 v37, v34, s69, v46
	v_cmp_nlg_f32_e64 s[36:37], |v34|, s68
	v_cndmask_b32_e64 v11, v38, v11, s[38:39]
	v_med3_f32 v38, v36, s69, v46
	v_cmp_nlg_f32_e64 s[38:39], |v36|, s68
	v_cmp_nlg_f32_e64 s[40:41], |v13|, s68
	v_med3_f32 v48, v12, s69, v46
	v_med3_f32 v49, v16, s69, v46
	v_cmp_nlg_f32_e64 s[16:17], |v16|, s68
	v_med3_f32 v52, v22, s69, v46
	v_cmp_nlg_f32_e64 s[22:23], |v22|, s68
	v_med3_f32 v53, v28, s69, v46
	v_cmp_nlg_f32_e64 s[24:25], |v28|, s68
	v_med3_f32 v47, v30, s69, v46
	v_cmp_nlg_f32_e64 s[30:31], |v30|, s68
	v_med3_f32 v56, v33, s69, v46
	v_cmp_nlg_f32_e64 s[34:35], |v33|, s68
	v_cndmask_b32_e64 v13, v39, v13, s[40:41]
	v_med3_f32 v39, v35, s69, v46
	v_cmp_nlg_f32_e64 s[40:41], |v35|, s68
	v_cmp_nlg_f32_e64 s[42:43], |v12|, s68
	v_cndmask_b32_e64 v17, v50, v17, s[18:19]
	v_cndmask_b32_e64 v23, v51, v23, s[20:21]
	;; [unrolled: 1-line block ×13, first 2 shown]
	v_cvt_pk_bf8_f32 v14, v11, v11
	v_cvt_pk_bf8_f32 v15, v13, v13
	;; [unrolled: 1-line block ×16, first 2 shown]
	v_lshlrev_b32_e32 v10, 8, v14
	v_and_b32_e32 v11, 0xff, v15
	v_lshlrev_b32_e32 v4, 8, v4
	v_and_b32_e32 v5, 0xff, v5
	;; [unrolled: 2-line block ×4, first 2 shown]
	v_accvgpr_read_b32 v30, a32
	v_lshlrev_b32_e32 v12, 24, v20
	v_lshlrev_b32_e32 v13, 24, v24
	;; [unrolled: 1-line block ×5, first 2 shown]
	v_perm_b32 v10, v10, v21, s70
	v_lshlrev_b32_e32 v5, 16, v5
	v_perm_b32 v1, v4, v1, s70
	v_lshlrev_b32_e32 v7, 16, v7
	;; [unrolled: 2-line block ×3, first 2 shown]
	v_perm_b32 v9, v14, v9, s70
	v_accvgpr_read_b32 v31, a33
	v_or3_b32 v4, v12, v11, v10
	v_or3_b32 v5, v13, v5, v1
	;; [unrolled: 1-line block ×4, first 2 shown]
	v_accvgpr_read_b32 v16, a38
	global_store_dwordx4 v[44:45], v[4:7], off nt
	s_andn2_b64 exec, exec, s[64:65]
	s_cbranch_execnz .LBB2_470
; %bb.471:                              ;   in Loop: Header=BB2_393 Depth=1
	s_or_b64 exec, exec, s[64:65]
	v_accvgpr_read_b32 v49, a7
	v_accvgpr_read_b32 v37, a5
	;; [unrolled: 1-line block ×3, first 2 shown]
	v_accvgpr_mov_b32 a6, a12
	v_accvgpr_read_b32 v59, a17
	v_accvgpr_read_b32 v53, a9
	;; [unrolled: 1-line block ×13, first 2 shown]
	v_accvgpr_mov_b32 a7, a13
	v_accvgpr_read_b32 v58, a16
	v_accvgpr_read_b32 v57, a15
	;; [unrolled: 1-line block ×12, first 2 shown]
	v_mov_b64_e32 v[14:15], v[40:41]
	v_accvgpr_read_b32 v50, a42
	v_accvgpr_read_b32 v9, a45
	v_mov_b32_e32 v17, 1
	v_accvgpr_read_b32 v32, a3
.LBB2_472:                              ;   in Loop: Header=BB2_393 Depth=1
	s_or_b64 exec, exec, s[62:63]
	v_and_b32_e32 v1, 15, v32
	v_cndmask_b32_e32 v19, v3, v1, vcc
	v_cmp_ne_u32_e64 s[16:17], 0, v19
	s_mov_b64 s[18:19], 0
	v_mov_b32_e32 v18, 0
                                        ; implicit-def: $vgpr21
                                        ; implicit-def: $vgpr5
	s_and_saveexec_b64 s[20:21], s[16:17]
	s_cbranch_execz .LBB2_474
; %bb.473:                              ;   in Loop: Header=BB2_393 Depth=1
	v_sub_u32_e32 v1, v3, v1
	v_and_b32_e32 v4, 0x3ffffc00, v32
	v_cndmask_b32_e32 v1, 0, v1, vcc
	v_cmp_lt_i32_e32 vcc, 0, v2
	v_add_u32_e32 v18, v1, v4
	s_mov_b64 s[18:19], exec
	v_cndmask_b32_e32 v1, 0, v30, vcc
	v_sub_u32_e32 v1, v1, v2
	v_lshl_add_u32 v21, v1, 6, v0
	v_ashrrev_i32_e32 v0, 31, v21
	v_lshrrev_b32_e32 v0, 26, v0
	v_add_u32_e32 v0, v21, v0
	v_ashrrev_i32_e32 v5, 6, v0
.LBB2_474:                              ;   in Loop: Header=BB2_393 Depth=1
	s_or_b64 exec, exec, s[20:21]
	s_and_b64 s[16:17], s[18:19], exec
.LBB2_475:                              ;   in Loop: Header=BB2_393 Depth=1
	s_or_b64 exec, exec, s[60:61]
	s_and_saveexec_b64 s[30:31], s[16:17]
	s_cbranch_execz .LBB2_484
.LBB2_476:                              ;   in Loop: Header=BB2_393 Depth=1
	v_ashrrev_i32_e32 v0, 31, v19
	v_lshrrev_b32_e32 v0, 23, v0
	v_add_u32_e32 v0, v19, v0
	v_ashrrev_i32_e32 v4, 9, v0
	v_sub_u32_e32 v0, v4, v5
	v_ashrrev_i32_e32 v1, 31, v21
	v_cmp_lt_i32_e32 vcc, 0, v0
	v_lshrrev_b32_e32 v1, 26, v1
	s_and_saveexec_b64 s[34:35], vcc
	s_cbranch_execz .LBB2_480
; %bb.477:                              ;   in Loop: Header=BB2_393 Depth=1
	s_trap 2
	ds_read_b64 v[40:41], v0
	v_add_u32_e32 v2, v21, v1
	v_and_b32_e32 v2, 0xffffffc0, v2
	v_sub_u32_e32 v2, v21, v2
	v_lshlrev_b32_e32 v3, 9, v5
	v_accvgpr_write_b32 a4, v12
	v_add3_u32 v42, v18, v2, v3
	v_accvgpr_write_b32 a0, v32
	v_accvgpr_write_b32 a5, v13
	v_mov_b64_e32 v[54:55], v[10:11]
	v_mov_b64_e32 v[32:33], v[26:27]
	v_ashrrev_i32_e32 v43, 31, v42
	s_mov_b64 s[36:37], 0
	s_waitcnt lgkmcnt(0)
	v_mov_b64_e32 v[44:45], v[40:41]
.LBB2_478:                              ;   Parent Loop BB2_393 Depth=1
                                        ; =>  This Inner Loop Header: Depth=2
	v_lshl_add_u64 v[2:3], v[42:43], 0, v[44:45]
	s_trap 2
	flat_load_ubyte v5, v[2:3] nt
	flat_load_ubyte v6, v[2:3] offset:64 nt
	flat_load_ubyte v7, v[2:3] offset:128 nt
	;; [unrolled: 1-line block ×7, first 2 shown]
	ds_read_b32 v13, v0
	v_sub_u32_e32 v0, v0, v30
	v_cmp_gt_i32_e32 vcc, 1, v0
	v_mov_b32_e32 v14, 0
	s_or_b64 s[36:37], vcc, s[36:37]
	s_waitcnt lgkmcnt(0)
	v_and_b32_e32 v13, 0xff, v13
	v_cvt_f32_bf8_sdwa v13, v13 src0_sel:BYTE_0
	v_mov_b32_e32 v15, 0
	v_mov_b32_e32 v16, 0
	;; [unrolled: 1-line block ×3, first 2 shown]
	v_lshl_add_u64 v[2:3], v[42:43], 0, v[40:41]
	v_mov_b32_e32 v20, 0
	v_mov_b32_e32 v22, 0
	;; [unrolled: 1-line block ×4, first 2 shown]
	v_lshl_add_u64 v[44:45], v[44:45], 0, v[50:51]
	v_lshl_add_u64 v[40:41], v[40:41], 0, v[50:51]
	s_waitcnt vmcnt(0)
	v_cvt_f32_bf8_sdwa v5, v5 src0_sel:BYTE_0
	v_cvt_f32_bf8_sdwa v6, v6 src0_sel:BYTE_0
	;; [unrolled: 1-line block ×8, first 2 shown]
	v_mul_f32_e32 v5, v13, v5
	v_mul_f32_e32 v6, v13, v6
	;; [unrolled: 1-line block ×8, first 2 shown]
	v_med3_f32 v13, v5, s69, v46
	v_cmp_nlg_f32_e64 s[28:29], |v5|, s68
	v_med3_f32 v25, v6, s69, v46
	v_cmp_nlg_f32_e64 vcc, |v6|, s68
	v_cndmask_b32_e64 v5, v13, v5, s[28:29]
	v_med3_f32 v26, v7, s69, v46
	v_cmp_nlg_f32_e64 s[16:17], |v7|, s68
	v_cndmask_b32_e32 v6, v25, v6, vcc
	v_cvt_pk_bf8_f32 v14, v5, v5
	v_med3_f32 v27, v8, s69, v46
	v_cmp_nlg_f32_e64 s[18:19], |v8|, s68
	v_med3_f32 v30, v11, s69, v46
	v_cmp_nlg_f32_e64 s[24:25], |v11|, s68
	;; [unrolled: 2-line block ×3, first 2 shown]
	v_cndmask_b32_e64 v7, v26, v7, s[16:17]
	v_cvt_pk_bf8_f32 v15, v6, v6
	v_med3_f32 v28, v9, s69, v46
	v_cmp_nlg_f32_e64 s[20:21], |v9|, s68
	v_med3_f32 v29, v10, s69, v46
	v_cmp_nlg_f32_e64 s[22:23], |v10|, s68
	v_cndmask_b32_e64 v8, v27, v8, s[18:19]
	v_cndmask_b32_e64 v11, v30, v11, s[24:25]
	;; [unrolled: 1-line block ×3, first 2 shown]
	v_accvgpr_read_b32 v30, a32
	v_cvt_pk_bf8_f32 v16, v7, v7
	v_cndmask_b32_e64 v9, v28, v9, s[20:21]
	v_cndmask_b32_e64 v10, v29, v10, s[22:23]
	v_accvgpr_read_b32 v31, a33
	v_cvt_pk_bf8_f32 v17, v8, v8
	v_cvt_pk_bf8_f32 v20, v9, v9
	v_cvt_pk_bf8_f32 v22, v10, v10
	v_cvt_pk_bf8_f32 v23, v11, v11
	v_cvt_pk_bf8_f32 v24, v12, v12
	flat_store_byte v[2:3], v14 nt
	flat_store_byte v[2:3], v15 offset:64 nt
	flat_store_byte v[2:3], v16 offset:128 nt
	flat_store_byte v[2:3], v17 offset:192 nt
	flat_store_byte v[2:3], v20 offset:256 nt
	flat_store_byte v[2:3], v22 offset:320 nt
	flat_store_byte v[2:3], v23 offset:384 nt
	flat_store_byte v[2:3], v24 offset:448 nt
	s_andn2_b64 exec, exec, s[36:37]
	s_cbranch_execnz .LBB2_478
; %bb.479:                              ;   in Loop: Header=BB2_393 Depth=1
	s_or_b64 exec, exec, s[36:37]
	v_accvgpr_read_b32 v22, a22
	v_accvgpr_read_b32 v28, a30
	v_accvgpr_read_b32 v13, a5
	v_accvgpr_read_b32 v14, a40
	v_accvgpr_read_b32 v8, a44
	v_accvgpr_read_b32 v20, a20
	v_accvgpr_read_b32 v23, a23
	v_mov_b64_e32 v[26:27], v[32:33]
	v_accvgpr_read_b32 v29, a31
	v_mov_b64_e32 v[10:11], v[54:55]
	v_accvgpr_read_b32 v12, a4
	v_accvgpr_read_b32 v16, a38
	;; [unrolled: 1-line block ×4, first 2 shown]
	v_mov_b32_e32 v17, 1
	v_accvgpr_read_b32 v32, a0
.LBB2_480:                              ;   in Loop: Header=BB2_393 Depth=1
	s_or_b64 exec, exec, s[34:35]
	v_lshlrev_b32_e32 v2, 9, v4
	v_cmp_ne_u32_e32 vcc, v19, v2
	s_and_b64 exec, exec, vcc
	s_cbranch_execz .LBB2_484
; %bb.481:                              ;   in Loop: Header=BB2_393 Depth=1
	v_add_u32_e32 v1, v21, v1
	v_and_b32_e32 v1, 0xffffffc0, v1
	v_sub_u32_e32 v1, v21, v1
	v_lshlrev_b32_e32 v0, 6, v0
	v_sub_u32_e32 v0, v1, v0
	v_add_u32_e32 v1, v2, v0
	v_sub_u32_e32 v0, v19, v1
	v_cmp_lt_i32_e32 vcc, 0, v0
	s_and_b64 exec, exec, vcc
	s_cbranch_execz .LBB2_484
; %bb.482:                              ;   in Loop: Header=BB2_393 Depth=1
	s_trap 2
	ds_read_b64 v[2:3], v0
	v_add_u32_e32 v24, v1, v18
	v_ashrrev_i32_e32 v25, 31, v24
	s_mov_b64 s[16:17], 0
.LBB2_483:                              ;   Parent Loop BB2_393 Depth=1
                                        ; =>  This Inner Loop Header: Depth=2
	s_waitcnt lgkmcnt(0)
	v_lshl_add_u64 v[4:5], v[2:3], 0, v[24:25]
	s_trap 2
	flat_load_ubyte v1, v[4:5] nt
	ds_read_b32 v6, v0
	v_mov_b32_e32 v7, 0
	v_sub_u32_e32 v0, v0, v8
	v_lshl_add_u64 v[24:25], v[24:25], 0, v[8:9]
	s_waitcnt lgkmcnt(0)
	v_and_b32_e32 v6, 0xff, v6
	v_cvt_f32_bf8_sdwa v6, v6 src0_sel:BYTE_0
	s_waitcnt vmcnt(0)
	v_cvt_f32_bf8_sdwa v1, v1 src0_sel:BYTE_0
	s_nop 0
	v_mul_f32_e32 v1, v6, v1
	v_med3_f32 v6, v1, s69, v46
	v_cmp_nlg_f32_e64 vcc, |v1|, s68
	s_nop 1
	v_cndmask_b32_e32 v1, v6, v1, vcc
	v_cvt_pk_bf8_f32 v7, v1, v1
	v_cmp_gt_i32_e32 vcc, 1, v0
	s_or_b64 s[16:17], vcc, s[16:17]
	flat_store_byte v[4:5], v7 nt
	s_andn2_b64 exec, exec, s[16:17]
	s_cbranch_execnz .LBB2_483
.LBB2_484:                              ;   in Loop: Header=BB2_393 Depth=1
	s_or_b64 exec, exec, s[30:31]
	v_accvgpr_read_b32 v4, a46
	v_cmp_ne_u32_e64 s[16:17], 0, v32
	v_accvgpr_read_b32 v5, a47
	v_accvgpr_read_b32 v6, a48
.LBB2_485:                              ;   in Loop: Header=BB2_393 Depth=1
	s_and_saveexec_b64 s[18:19], s[4:5]
	s_cbranch_execz .LBB2_504
; %bb.486:                              ;   in Loop: Header=BB2_393 Depth=1
	s_and_saveexec_b64 s[20:21], s[52:53]
	s_xor_b64 s[20:21], exec, s[20:21]
	s_cbranch_execz .LBB2_501
; %bb.487:                              ;   in Loop: Header=BB2_393 Depth=1
	s_and_saveexec_b64 s[22:23], s[6:7]
	s_cbranch_execz .LBB2_500
; %bb.488:                              ;   in Loop: Header=BB2_393 Depth=1
	s_mov_b64 s[26:27], exec
	v_mbcnt_lo_u32_b32 v0, s26, 0
	v_mbcnt_hi_u32_b32 v0, s27, v0
	v_cmp_eq_u32_e32 vcc, 0, v0
	s_waitcnt lgkmcnt(0)
	s_and_saveexec_b64 s[24:25], vcc
	s_cbranch_execz .LBB2_490
; %bb.489:                              ;   in Loop: Header=BB2_393 Depth=1
	s_bcnt1_i32_b64 s26, s[26:27]
	v_mov_b32_e32 v0, s26
	v_mov_b32_e32 v1, v11
	ds_add_u64 v0, v[0:1]
	s_trap 2
.LBB2_490:                              ;   in Loop: Header=BB2_393 Depth=1
	s_or_b64 exec, exec, s[24:25]
	s_trap 2
	ds_read_b64 v[0:1], v0
	v_lshl_add_u64 v[34:35], v[34:35], 0, v[30:31]
	s_waitcnt lgkmcnt(0)
	v_cmp_lt_u64_e32 vcc, v[0:1], v[34:35]
	s_and_saveexec_b64 s[24:25], vcc
	s_cbranch_execz .LBB2_499
; %bb.491:                              ;   in Loop: Header=BB2_393 Depth=1
	s_mov_b32 s38, 0
	s_mov_b64 s[26:27], 0
                                        ; implicit-def: $sgpr28_sgpr29
                                        ; implicit-def: $sgpr30_sgpr31
	s_branch .LBB2_493
.LBB2_492:                              ;   in Loop: Header=BB2_493 Depth=2
	s_or_b64 exec, exec, s[36:37]
	s_and_b64 vcc, exec, vcc
	s_or_b64 s[26:27], vcc, s[26:27]
	s_andn2_b64 s[28:29], s[28:29], exec
	s_and_b64 vcc, s[30:31], exec
	s_or_b64 s[28:29], s[28:29], vcc
	s_andn2_b64 exec, exec, s[26:27]
	s_cbranch_execz .LBB2_497
.LBB2_493:                              ;   Parent Loop BB2_393 Depth=1
                                        ; =>  This Inner Loop Header: Depth=2
	s_add_i32 s38, s38, 1
	s_cmpk_lg_i32 s38, 0x2710
	s_cselect_b64 s[34:35], -1, 0
	s_and_b64 vcc, exec, s[34:35]
                                        ; implicit-def: $sgpr36_sgpr37
	s_cbranch_vccnz .LBB2_495
; %bb.494:                              ;   in Loop: Header=BB2_493 Depth=2
	s_trap 2
	ds_read_b64 v[0:1], v0
	s_andn2_b64 s[34:35], s[34:35], exec
	s_mov_b32 s38, 0
	s_mov_b64 s[36:37], -1
	s_waitcnt vmcnt(0) lgkmcnt(0)
	flat_load_dword v0, v[0:1] sc0 sc1
	s_waitcnt vmcnt(0) lgkmcnt(0)
	buffer_inv sc0 sc1
	v_cmp_eq_u32_e32 vcc, 0, v0
	s_and_b64 vcc, vcc, exec
	s_or_b64 s[34:35], s[34:35], vcc
.LBB2_495:                              ;   in Loop: Header=BB2_493 Depth=2
	s_andn2_b64 s[30:31], s[30:31], exec
	s_and_b64 s[36:37], s[36:37], exec
	s_mov_b64 vcc, -1
	s_or_b64 s[30:31], s[30:31], s[36:37]
	s_and_saveexec_b64 s[36:37], s[34:35]
	s_cbranch_execz .LBB2_492
; %bb.496:                              ;   in Loop: Header=BB2_493 Depth=2
	s_sleep 1
	s_trap 2
	ds_read_b64 v[0:1], v0
	s_andn2_b64 s[30:31], s[30:31], exec
	s_waitcnt lgkmcnt(0)
	v_cmp_ge_u64_e32 vcc, v[0:1], v[34:35]
	s_orn2_b64 vcc, vcc, exec
	s_branch .LBB2_492
.LBB2_497:                              ;   in Loop: Header=BB2_393 Depth=1
	s_or_b64 exec, exec, s[26:27]
	s_and_saveexec_b64 s[26:27], s[28:29]
	s_xor_b64 s[26:27], exec, s[26:27]
	s_cbranch_execz .LBB2_499
; %bb.498:                              ;   in Loop: Header=BB2_393 Depth=1
	ds_write_b32 v0, v17
	s_trap 2
.LBB2_499:                              ;   in Loop: Header=BB2_393 Depth=1
	s_or_b64 exec, exec, s[24:25]
	;;#ASMSTART
	s_wakeup
	;;#ASMEND
.LBB2_500:                              ;   in Loop: Header=BB2_393 Depth=1
	s_or_b64 exec, exec, s[22:23]
.LBB2_501:                              ;   in Loop: Header=BB2_393 Depth=1
	s_andn2_saveexec_b64 s[20:21], s[20:21]
	s_cbranch_execz .LBB2_503
; %bb.502:                              ;   in Loop: Header=BB2_393 Depth=1
	s_waitcnt lgkmcnt(0)
	s_barrier
.LBB2_503:                              ;   in Loop: Header=BB2_393 Depth=1
	s_or_b64 exec, exec, s[20:21]
.LBB2_504:                              ;   in Loop: Header=BB2_393 Depth=1
	s_or_b64 exec, exec, s[18:19]
	v_and_b32_e32 v0, 16, v60
	v_cmp_ne_u32_e32 vcc, 0, v0
	s_and_b64 s[18:19], vcc, s[16:17]
	s_and_saveexec_b64 s[16:17], s[18:19]
	s_cbranch_execz .LBB2_506
; %bb.505:                              ;   in Loop: Header=BB2_393 Depth=1
	buffer_wbl2 sc1
	s_waitcnt vmcnt(0) lgkmcnt(0)
	buffer_inv sc1
.LBB2_506:                              ;   in Loop: Header=BB2_393 Depth=1
	s_or_b64 exec, exec, s[16:17]
	v_cmp_ne_u32_e32 vcc, 0, v0
	s_and_saveexec_b64 s[16:17], vcc
	s_cbranch_execz .LBB2_510
; %bb.507:                              ;   in Loop: Header=BB2_393 Depth=1
	s_and_saveexec_b64 s[18:19], s[14:15]
	s_cbranch_execz .LBB2_509
; %bb.508:                              ;   in Loop: Header=BB2_393 Depth=1
	flat_store_dword v[28:29], v17 sc0 sc1
.LBB2_509:                              ;   in Loop: Header=BB2_393 Depth=1
	s_or_b64 exec, exec, s[18:19]
	v_lshl_add_u64 v[58:59], v[58:59], 0, 1
	flat_store_dwordx2 v[52:53], v[58:59] sc0 sc1
.LBB2_510:                              ;   in Loop: Header=BB2_393 Depth=1
	s_or_b64 exec, exec, s[16:17]
	v_mov_b32_e32 v0, v10
.LBB2_511:                              ;   in Loop: Header=BB2_393 Depth=1
	s_or_b64 exec, exec, s[58:59]
	s_and_saveexec_b64 s[18:19], s[56:57]
	s_cbranch_execz .LBB2_392
; %bb.512:                              ;   in Loop: Header=BB2_393 Depth=1
	v_and_b32_e32 v1, 8, v60
	v_cmp_ne_u32_e32 vcc, 0, v1
	s_mov_b64 s[20:21], -1
	v_lshl_add_u64 v[40:41], v[58:59], 0, 1
	s_and_saveexec_b64 s[16:17], vcc
	s_cbranch_execz .LBB2_524
; %bb.513:                              ;   in Loop: Header=BB2_393 Depth=1
	v_lshl_add_u64 v[2:3], v[26:27], 0, 8
	v_lshl_add_u64 v[42:43], v[58:59], 0, 1
	v_cmp_lt_u64_e32 vcc, v[2:3], v[42:43]
	v_mov_b32_e32 v1, 1
	s_and_saveexec_b64 s[20:21], vcc
	s_cbranch_execz .LBB2_523
; %bb.514:                              ;   in Loop: Header=BB2_393 Depth=1
	s_mov_b64 s[22:23], 0
	v_mov_b32_e32 v1, 0
                                        ; implicit-def: $sgpr24_sgpr25
	s_branch .LBB2_518
.LBB2_515:                              ;   in Loop: Header=BB2_518 Depth=2
	s_or_b64 exec, exec, s[34:35]
	v_mov_b32_e32 v2, 0
	s_orn2_b64 s[30:31], s[30:31], exec
.LBB2_516:                              ;   in Loop: Header=BB2_518 Depth=2
	s_or_b64 exec, exec, s[28:29]
	s_andn2_b64 s[24:25], s[24:25], exec
	s_and_b64 s[28:29], s[30:31], exec
	s_or_b64 s[24:25], s[24:25], s[28:29]
	v_mov_b32_e32 v1, v2
.LBB2_517:                              ;   in Loop: Header=BB2_518 Depth=2
	s_or_b64 exec, exec, s[26:27]
	s_waitcnt vmcnt(0) lgkmcnt(0)
	v_lshl_add_u64 v[2:3], v[26:27], 0, 8
	v_cmp_ge_u64_e32 vcc, v[2:3], v[42:43]
	s_xor_b64 s[26:27], s[24:25], -1
	s_or_b64 s[26:27], s[26:27], vcc
	s_and_b64 s[26:27], exec, s[26:27]
	s_or_b64 s[22:23], s[26:27], s[22:23]
	s_andn2_b64 exec, exec, s[22:23]
	s_cbranch_execz .LBB2_522
.LBB2_518:                              ;   Parent Loop BB2_393 Depth=1
                                        ; =>  This Inner Loop Header: Depth=2
	s_sleep 1
	flat_load_dwordx2 v[26:27], v[52:53] sc0 sc1
	v_and_b32_e32 v2, 64, v60
	v_cmp_eq_u32_e32 vcc, 0, v2
	s_andn2_b64 s[24:25], s[24:25], exec
	s_and_saveexec_b64 s[26:27], vcc
	s_cbranch_execz .LBB2_517
; %bb.519:                              ;   in Loop: Header=BB2_518 Depth=2
	v_add_u32_e32 v2, 1, v1
	v_cmp_lt_i32_e32 vcc, s67, v1
	s_mov_b64 s[30:31], -1
	s_and_saveexec_b64 s[28:29], vcc
	s_cbranch_execz .LBB2_516
; %bb.520:                              ;   in Loop: Header=BB2_518 Depth=2
	s_trap 2
	ds_read_b64 v[2:3], v0
	s_waitcnt vmcnt(0) lgkmcnt(0)
	flat_load_dword v1, v[2:3] sc0 sc1
	s_waitcnt vmcnt(0) lgkmcnt(0)
	buffer_inv sc0 sc1
	v_cmp_ne_u32_e32 vcc, 0, v1
	s_and_saveexec_b64 s[34:35], vcc
	s_cbranch_execz .LBB2_515
; %bb.521:                              ;   in Loop: Header=BB2_518 Depth=2
	v_or_b32_e32 v60, 64, v60
	s_xor_b64 s[30:31], exec, -1
	ds_write_b32 v0, v1
	s_trap 2
	s_branch .LBB2_515
.LBB2_522:                              ;   in Loop: Header=BB2_393 Depth=1
	s_or_b64 exec, exec, s[22:23]
	v_and_b32_e32 v1, 8, v60
.LBB2_523:                              ;   in Loop: Header=BB2_393 Depth=1
	s_or_b64 exec, exec, s[20:21]
	v_cmp_eq_u32_e32 vcc, 0, v1
	s_orn2_b64 s[20:21], vcc, exec
	;;#ASMSTART
	s_wakeup
	;;#ASMEND
.LBB2_524:                              ;   in Loop: Header=BB2_393 Depth=1
	s_or_b64 exec, exec, s[16:17]
	v_sub_u32_e32 v0, v6, v0
	s_xor_b64 s[16:17], s[20:21], -1
	v_min_i32_e32 v54, v10, v0
	s_and_saveexec_b64 s[20:21], s[16:17]
	s_cbranch_execz .LBB2_534
; %bb.525:                              ;   in Loop: Header=BB2_393 Depth=1
	v_and_b32_e32 v0, 0x100, v60
	v_cmp_ne_u32_e32 vcc, 0, v0
	v_and_b32_e32 v0, 7, v58
	s_mov_b64 s[16:17], -1
                                        ; implicit-def: $vgpr2_vgpr3
	s_and_saveexec_b64 s[22:23], vcc
	s_cbranch_execz .LBB2_529
; %bb.526:                              ;   in Loop: Header=BB2_393 Depth=1
	v_mad_u64_u32 v[8:9], s[16:17], v0, 24, v[56:57]
	flat_load_dword v1, v[8:9]
	v_ashrrev_i32_e32 v55, 31, v54
	flat_store_dwordx2 v[8:9], v[54:55] offset:8
                                        ; implicit-def: $vgpr2_vgpr3
	s_waitcnt vmcnt(0) lgkmcnt(0)
	v_cmp_ne_u32_e32 vcc, 1, v1
	v_cmp_eq_u32_e64 s[16:17], 1, v1
	s_and_saveexec_b64 s[24:25], s[16:17]
	s_cbranch_execz .LBB2_528
; %bb.527:                              ;   in Loop: Header=BB2_393 Depth=1
	flat_load_dword v2, v[8:9] offset:4 sc0 sc1
	s_waitcnt vmcnt(0) lgkmcnt(0)
	v_ashrrev_i32_e32 v3, 31, v2
.LBB2_528:                              ;   in Loop: Header=BB2_393 Depth=1
	s_or_b64 exec, exec, s[24:25]
	v_accvgpr_read_b32 v8, a44
	s_orn2_b64 s[16:17], vcc, exec
	v_accvgpr_read_b32 v9, a45
.LBB2_529:                              ;   in Loop: Header=BB2_393 Depth=1
	s_or_b64 exec, exec, s[22:23]
	s_and_saveexec_b64 s[22:23], s[16:17]
; %bb.530:                              ;   in Loop: Header=BB2_393 Depth=1
	v_mad_i64_i32 v[2:3], s[16:17], v0, v20, 0
; %bb.531:                              ;   in Loop: Header=BB2_393 Depth=1
	s_or_b64 exec, exec, s[22:23]
	v_lshl_add_u64 v[0:1], v[22:23], 0, v[2:3]
	ds_write_b64 v0, v[0:1] offset:784
	v_and_b32_e32 v0, 0x2000, v60
	v_cmp_ne_u32_e32 vcc, 0, v0
	s_and_saveexec_b64 s[16:17], vcc
	s_cbranch_execz .LBB2_533
; %bb.532:                              ;   in Loop: Header=BB2_393 Depth=1
	ds_read_b64 v[0:1], v0 offset:584
	s_waitcnt lgkmcnt(0)
	v_lshl_add_u64 v[0:1], v[0:1], 0, 1
	ds_write_b64 v0, v[0:1] offset:584
.LBB2_533:                              ;   in Loop: Header=BB2_393 Depth=1
	s_or_b64 exec, exec, s[16:17]
	v_mov_b64_e32 v[58:59], v[40:41]
.LBB2_534:                              ;   in Loop: Header=BB2_393 Depth=1
	s_or_b64 exec, exec, s[20:21]
	s_and_saveexec_b64 s[16:17], s[4:5]
	s_cbranch_execz .LBB2_553
; %bb.535:                              ;   in Loop: Header=BB2_393 Depth=1
	s_and_saveexec_b64 s[20:21], s[52:53]
	s_xor_b64 s[20:21], exec, s[20:21]
	s_cbranch_execz .LBB2_550
; %bb.536:                              ;   in Loop: Header=BB2_393 Depth=1
	s_and_saveexec_b64 s[22:23], s[6:7]
	s_cbranch_execz .LBB2_549
; %bb.537:                              ;   in Loop: Header=BB2_393 Depth=1
	s_mov_b64 s[26:27], exec
	v_mbcnt_lo_u32_b32 v0, s26, 0
	v_mbcnt_hi_u32_b32 v0, s27, v0
	v_cmp_eq_u32_e32 vcc, 0, v0
	s_waitcnt lgkmcnt(0)
	s_and_saveexec_b64 s[24:25], vcc
	s_cbranch_execz .LBB2_539
; %bb.538:                              ;   in Loop: Header=BB2_393 Depth=1
	s_bcnt1_i32_b64 s26, s[26:27]
	v_mov_b32_e32 v10, s26
	ds_add_u64 v0, v[10:11]
	s_trap 2
.LBB2_539:                              ;   in Loop: Header=BB2_393 Depth=1
	s_or_b64 exec, exec, s[24:25]
	s_trap 2
	ds_read_b64 v[0:1], v0
	v_lshl_add_u64 v[34:35], v[34:35], 0, v[30:31]
	s_waitcnt lgkmcnt(0)
	v_cmp_lt_u64_e32 vcc, v[0:1], v[34:35]
	s_and_saveexec_b64 s[24:25], vcc
	s_cbranch_execz .LBB2_548
; %bb.540:                              ;   in Loop: Header=BB2_393 Depth=1
	s_mov_b32 s38, 0
	s_mov_b64 s[26:27], 0
                                        ; implicit-def: $sgpr28_sgpr29
                                        ; implicit-def: $sgpr30_sgpr31
	s_branch .LBB2_542
.LBB2_541:                              ;   in Loop: Header=BB2_542 Depth=2
	s_or_b64 exec, exec, s[36:37]
	s_and_b64 vcc, exec, vcc
	s_or_b64 s[26:27], vcc, s[26:27]
	s_andn2_b64 s[28:29], s[28:29], exec
	s_and_b64 vcc, s[30:31], exec
	s_or_b64 s[28:29], s[28:29], vcc
	s_andn2_b64 exec, exec, s[26:27]
	s_cbranch_execz .LBB2_546
.LBB2_542:                              ;   Parent Loop BB2_393 Depth=1
                                        ; =>  This Inner Loop Header: Depth=2
	s_add_i32 s38, s38, 1
	s_cmpk_lg_i32 s38, 0x2710
	s_cselect_b64 s[34:35], -1, 0
	s_and_b64 vcc, exec, s[34:35]
                                        ; implicit-def: $sgpr36_sgpr37
	s_cbranch_vccnz .LBB2_544
; %bb.543:                              ;   in Loop: Header=BB2_542 Depth=2
	s_trap 2
	ds_read_b64 v[0:1], v0
	s_andn2_b64 s[34:35], s[34:35], exec
	s_mov_b32 s38, 0
	s_mov_b64 s[36:37], -1
	s_waitcnt vmcnt(0) lgkmcnt(0)
	flat_load_dword v0, v[0:1] sc0 sc1
	s_waitcnt vmcnt(0) lgkmcnt(0)
	buffer_inv sc0 sc1
	v_cmp_eq_u32_e32 vcc, 0, v0
	s_and_b64 vcc, vcc, exec
	s_or_b64 s[34:35], s[34:35], vcc
.LBB2_544:                              ;   in Loop: Header=BB2_542 Depth=2
	s_andn2_b64 s[30:31], s[30:31], exec
	s_and_b64 s[36:37], s[36:37], exec
	s_mov_b64 vcc, -1
	s_or_b64 s[30:31], s[30:31], s[36:37]
	s_and_saveexec_b64 s[36:37], s[34:35]
	s_cbranch_execz .LBB2_541
; %bb.545:                              ;   in Loop: Header=BB2_542 Depth=2
	s_sleep 1
	s_trap 2
	ds_read_b64 v[0:1], v0
	s_andn2_b64 s[30:31], s[30:31], exec
	s_waitcnt lgkmcnt(0)
	v_cmp_ge_u64_e32 vcc, v[0:1], v[34:35]
	s_orn2_b64 vcc, vcc, exec
	s_branch .LBB2_541
.LBB2_546:                              ;   in Loop: Header=BB2_393 Depth=1
	s_or_b64 exec, exec, s[26:27]
	s_and_saveexec_b64 s[26:27], s[28:29]
	s_xor_b64 s[26:27], exec, s[26:27]
	s_cbranch_execz .LBB2_548
; %bb.547:                              ;   in Loop: Header=BB2_393 Depth=1
	ds_write_b32 v0, v17
	s_trap 2
.LBB2_548:                              ;   in Loop: Header=BB2_393 Depth=1
	s_or_b64 exec, exec, s[24:25]
	;;#ASMSTART
	s_wakeup
	;;#ASMEND
.LBB2_549:                              ;   in Loop: Header=BB2_393 Depth=1
	s_or_b64 exec, exec, s[22:23]
.LBB2_550:                              ;   in Loop: Header=BB2_393 Depth=1
	s_andn2_saveexec_b64 s[20:21], s[20:21]
	s_cbranch_execz .LBB2_552
; %bb.551:                              ;   in Loop: Header=BB2_393 Depth=1
	s_waitcnt lgkmcnt(0)
	s_barrier
.LBB2_552:                              ;   in Loop: Header=BB2_393 Depth=1
	s_or_b64 exec, exec, s[20:21]
.LBB2_553:                              ;   in Loop: Header=BB2_393 Depth=1
	s_or_b64 exec, exec, s[16:17]
	s_trap 2
	ds_read_b32 v1, v0
	v_cmp_lt_i32_e32 vcc, 0, v54
	v_and_b32_e32 v0, 16, v60
	s_waitcnt lgkmcnt(0)
	v_readfirstlane_b32 s16, v1
	s_cmp_eq_u32 s16, 0
	s_cselect_b64 s[16:17], -1, 0
	s_and_b64 s[16:17], vcc, s[16:17]
	v_cmp_ne_u32_e32 vcc, 0, v0
	s_and_b64 s[20:21], vcc, s[16:17]
	s_and_saveexec_b64 s[16:17], s[20:21]
	s_cbranch_execz .LBB2_555
; %bb.554:                              ;   in Loop: Header=BB2_393 Depth=1
	buffer_wbl2 sc1
	s_waitcnt vmcnt(0)
	buffer_inv sc1
.LBB2_555:                              ;   in Loop: Header=BB2_393 Depth=1
	s_or_b64 exec, exec, s[16:17]
	v_cmp_ne_u32_e32 vcc, 0, v0
	s_and_saveexec_b64 s[16:17], vcc
	s_cbranch_execz .LBB2_391
; %bb.556:                              ;   in Loop: Header=BB2_393 Depth=1
	s_and_saveexec_b64 s[20:21], s[14:15]
	s_cbranch_execz .LBB2_390
; %bb.557:                              ;   in Loop: Header=BB2_393 Depth=1
	flat_store_dword v[28:29], v17 sc0 sc1
	s_branch .LBB2_390
.LBB2_558:
	s_or_b64 exec, exec, s[50:51]
	v_accvgpr_read_b32 v51, a7
	v_accvgpr_read_b32 v50, a6
.LBB2_559:
	s_or_b64 exec, exec, s[48:49]
.LBB2_560:
	s_or_b64 exec, exec, s[46:47]
	v_and_b32_e32 v0, 0x800, v60
	v_cmp_eq_u32_e32 vcc, 0, v0
	s_and_saveexec_b64 s[0:1], vcc
	s_cbranch_execz .LBB2_595
; %bb.561:
	v_and_b32_e32 v0, 48, v60
	v_cmp_ne_u32_e32 vcc, 0, v0
	s_and_saveexec_b64 s[2:3], vcc
	s_cbranch_execz .LBB2_563
; %bb.562:
	s_waitcnt lgkmcnt(0)
	flat_store_dwordx2 v[50:51], v[58:59] offset:104
.LBB2_563:
	s_or_b64 exec, exec, s[2:3]
	s_movk_i32 s2, 0x88
	v_and_b32_e32 v0, 0x88, v60
	v_cmp_eq_u32_e32 vcc, s2, v0
	s_and_saveexec_b64 s[2:3], vcc
	s_cbranch_execz .LBB2_575
; %bb.564:
	s_waitcnt lgkmcnt(0)
	v_add_u32_e32 v0, -1, v58
	v_and_b32_e32 v0, 7, v0
	v_mad_u64_u32 v[0:1], s[4:5], v0, 24, v[56:57]
	v_lshl_add_u64 v[4:5], v[0:1], 0, 8
	s_mov_b64 s[4:5], 0
	v_mov_b32_e32 v0, 0
	s_movk_i32 s20, 0x270e
                                        ; implicit-def: $sgpr6_sgpr7
	s_branch .LBB2_569
.LBB2_565:                              ;   in Loop: Header=BB2_569 Depth=1
	s_or_b64 exec, exec, s[18:19]
	v_mov_b32_e32 v1, 0
	s_orn2_b64 s[16:17], s[16:17], exec
.LBB2_566:                              ;   in Loop: Header=BB2_569 Depth=1
	s_or_b64 exec, exec, s[14:15]
	s_and_b64 s[14:15], s[16:17], exec
	v_mov_b32_e32 v0, v1
.LBB2_567:                              ;   in Loop: Header=BB2_569 Depth=1
	s_or_b64 exec, exec, s[12:13]
	s_xor_b64 s[12:13], s[14:15], -1
	s_andn2_b64 s[6:7], s[6:7], exec
	s_and_b64 s[12:13], s[12:13], exec
	s_or_b64 s[6:7], s[6:7], s[12:13]
.LBB2_568:                              ;   in Loop: Header=BB2_569 Depth=1
	s_or_b64 exec, exec, s[10:11]
	s_and_b64 s[10:11], exec, s[6:7]
	s_or_b64 s[4:5], s[10:11], s[4:5]
	s_andn2_b64 exec, exec, s[4:5]
	s_cbranch_execz .LBB2_574
.LBB2_569:                              ; =>This Inner Loop Header: Depth=1
	flat_load_dwordx2 v[2:3], v[4:5] sc0 sc1
	s_waitcnt vmcnt(0)
	s_or_b64 s[6:7], s[6:7], exec
	s_waitcnt lgkmcnt(0)
	v_cmp_ne_u64_e32 vcc, -1, v[2:3]
	s_and_saveexec_b64 s[10:11], vcc
	s_cbranch_execz .LBB2_568
; %bb.570:                              ;   in Loop: Header=BB2_569 Depth=1
	v_and_b32_e32 v1, 64, v60
	v_cmp_eq_u32_e32 vcc, 0, v1
	s_mov_b64 s[14:15], 0
	s_and_saveexec_b64 s[12:13], vcc
	s_cbranch_execz .LBB2_567
; %bb.571:                              ;   in Loop: Header=BB2_569 Depth=1
	v_add_u32_e32 v1, 1, v0
	v_cmp_lt_i32_e32 vcc, s20, v0
	s_mov_b64 s[16:17], -1
	s_and_saveexec_b64 s[14:15], vcc
	s_cbranch_execz .LBB2_566
; %bb.572:                              ;   in Loop: Header=BB2_569 Depth=1
	s_trap 2
	ds_read_b64 v[0:1], v0
	s_waitcnt lgkmcnt(0)
	flat_load_dword v0, v[0:1] sc0 sc1
	s_waitcnt vmcnt(0) lgkmcnt(0)
	buffer_inv sc0 sc1
	v_cmp_ne_u32_e32 vcc, 0, v0
	s_and_saveexec_b64 s[18:19], vcc
	s_cbranch_execz .LBB2_565
; %bb.573:                              ;   in Loop: Header=BB2_569 Depth=1
	v_or_b32_e32 v60, 64, v60
	s_xor_b64 s[16:17], exec, -1
	ds_write_b32 v0, v0
	s_trap 2
	s_branch .LBB2_565
.LBB2_574:
	s_or_b64 exec, exec, s[4:5]
.LBB2_575:
	s_or_b64 exec, exec, s[2:3]
	v_and_b32_e32 v0, 0x2000, v60
	v_cmp_ne_u32_e32 vcc, 0, v0
	s_and_saveexec_b64 s[2:3], vcc
	s_cbranch_execz .LBB2_577
; %bb.576:
	s_trap 2
	ds_read_b64 v[0:1], v0
	v_accvgpr_read_b32 v2, a10
	v_accvgpr_read_b32 v3, a11
	s_waitcnt lgkmcnt(0)
	flat_store_dwordx2 v[2:3], v[0:1] offset:16
.LBB2_577:
	s_or_b64 exec, exec, s[2:3]
	v_cmp_ne_u32_e32 vcc, 64, v61
	s_and_b64 exec, exec, vcc
	s_cbranch_execz .LBB2_595
; %bb.578:
	v_accvgpr_read_b32 v0, a2
	v_cmp_ne_u32_sdwa s[2:3], v0, v61 src0_sel:WORD_0 src1_sel:DWORD
	s_and_saveexec_b64 s[4:5], s[2:3]
	s_xor_b64 s[2:3], exec, s[4:5]
	s_cbranch_execz .LBB2_593
; %bb.579:
	v_accvgpr_read_b32 v0, a1
	v_and_b32_e32 v0, 63, v0
	v_cmp_eq_u32_e32 vcc, 0, v0
	s_and_saveexec_b64 s[4:5], vcc
	s_cbranch_execz .LBB2_592
; %bb.580:
	s_mov_b64 s[10:11], exec
	v_mbcnt_lo_u32_b32 v0, s10, 0
	v_mbcnt_hi_u32_b32 v0, s11, v0
	v_cmp_eq_u32_e32 vcc, 0, v0
	s_waitcnt lgkmcnt(0)
	s_and_saveexec_b64 s[6:7], vcc
	s_cbranch_execz .LBB2_582
; %bb.581:
	s_bcnt1_i32_b64 s10, s[10:11]
	v_mov_b32_e32 v0, s10
	v_mov_b32_e32 v1, 0
	ds_add_u64 v0, v[0:1]
	s_trap 2
.LBB2_582:
	s_or_b64 exec, exec, s[6:7]
	v_ashrrev_i32_e32 v0, 31, v61
	v_lshrrev_b32_e32 v0, 26, v0
	s_trap 2
	ds_read_b64 v[2:3], v0
	v_add_u32_e32 v0, v61, v0
	v_ashrrev_i32_e32 v0, 6, v0
	v_ashrrev_i32_e32 v1, 31, v0
	v_lshl_add_u64 v[0:1], v[34:35], 0, v[0:1]
	s_waitcnt lgkmcnt(0)
	v_cmp_lt_u64_e32 vcc, v[2:3], v[0:1]
	s_and_saveexec_b64 s[6:7], vcc
	s_cbranch_execz .LBB2_591
; %bb.583:
	s_mov_b32 s22, 0
	s_mov_b64 s[10:11], 0
                                        ; implicit-def: $sgpr12_sgpr13
                                        ; implicit-def: $sgpr14_sgpr15
	s_branch .LBB2_585
.LBB2_584:                              ;   in Loop: Header=BB2_585 Depth=1
	s_or_b64 exec, exec, s[20:21]
	s_and_b64 s[16:17], exec, s[18:19]
	s_or_b64 s[10:11], s[16:17], s[10:11]
	s_andn2_b64 s[12:13], s[12:13], exec
	s_and_b64 s[16:17], s[14:15], exec
	s_or_b64 s[12:13], s[12:13], s[16:17]
	s_andn2_b64 exec, exec, s[10:11]
	s_cbranch_execz .LBB2_589
.LBB2_585:                              ; =>This Inner Loop Header: Depth=1
	s_add_i32 s22, s22, 1
	s_cmpk_lg_i32 s22, 0x2710
	s_cselect_b64 s[16:17], -1, 0
	s_and_b64 vcc, exec, s[16:17]
                                        ; implicit-def: $sgpr20_sgpr21
	s_cbranch_vccnz .LBB2_587
; %bb.586:                              ;   in Loop: Header=BB2_585 Depth=1
	s_trap 2
	ds_read_b64 v[2:3], v0
	s_andn2_b64 s[16:17], s[16:17], exec
	s_mov_b32 s22, 0
	s_mov_b64 s[20:21], -1
	s_waitcnt vmcnt(0) lgkmcnt(0)
	flat_load_dword v2, v[2:3] sc0 sc1
	s_waitcnt vmcnt(0) lgkmcnt(0)
	buffer_inv sc0 sc1
	v_cmp_eq_u32_e32 vcc, 0, v2
	s_and_b64 s[18:19], vcc, exec
	s_or_b64 s[16:17], s[16:17], s[18:19]
.LBB2_587:                              ;   in Loop: Header=BB2_585 Depth=1
	s_andn2_b64 s[14:15], s[14:15], exec
	s_and_b64 s[20:21], s[20:21], exec
	s_mov_b64 s[18:19], -1
	s_or_b64 s[14:15], s[14:15], s[20:21]
	s_and_saveexec_b64 s[20:21], s[16:17]
	s_cbranch_execz .LBB2_584
; %bb.588:                              ;   in Loop: Header=BB2_585 Depth=1
	s_sleep 1
	s_trap 2
	ds_read_b64 v[2:3], v0
	s_andn2_b64 s[14:15], s[14:15], exec
	s_waitcnt lgkmcnt(0)
	v_cmp_ge_u64_e32 vcc, v[2:3], v[0:1]
	s_orn2_b64 s[18:19], vcc, exec
	s_branch .LBB2_584
.LBB2_589:
	s_or_b64 exec, exec, s[10:11]
	s_and_saveexec_b64 s[10:11], s[12:13]
	s_xor_b64 s[10:11], exec, s[10:11]
	s_cbranch_execz .LBB2_591
; %bb.590:
	v_mov_b32_e32 v0, 1
	ds_write_b32 v0, v0
	s_trap 2
.LBB2_591:
	s_or_b64 exec, exec, s[6:7]
	;;#ASMSTART
	s_wakeup
	;;#ASMEND
.LBB2_592:
	s_or_b64 exec, exec, s[4:5]
.LBB2_593:
	s_andn2_saveexec_b64 s[2:3], s[2:3]
	s_cbranch_execz .LBB2_595
; %bb.594:
	s_waitcnt lgkmcnt(0)
	s_barrier
.LBB2_595:
	s_or_b64 exec, exec, s[0:1]
.LBB2_596:
	s_andn2_saveexec_b64 s[22:23], s[44:45]
	s_cbranch_execz .LBB2_598
; %bb.597:
	s_getpc_b64 s[0:1]
	s_add_u32 s0, s0, __PRETTY_FUNCTION__._ZN10PrimitivesI19__hip_fp8_e5m2_fnuz13FuncPreMulSumIS0_E12FanSymmetricILi1EELi0E11ProtoSimpleILi1ELi1ELi0ELi1ELi0ELi0EELi0ELb0ELi0ELi0ELi0EEC2EiiPKiS9_PKvPvmhhhP15ncclDevWorkCollP14ncclDevWorkP2pii@rel32@lo+4
	s_addc_u32 s1, s1, __PRETTY_FUNCTION__._ZN10PrimitivesI19__hip_fp8_e5m2_fnuz13FuncPreMulSumIS0_E12FanSymmetricILi1EELi0E11ProtoSimpleILi1ELi1ELi0ELi1ELi0ELi0EELi0ELb0ELi0ELi0ELi0EEC2EiiPKiS9_PKvPvmhhhP15ncclDevWorkCollP14ncclDevWorkP2pii@rel32@hi+12
	v_mov_b32_e32 v0, s0
	v_mov_b32_e32 v1, s1
	s_getpc_b64 s[2:3]
	s_add_u32 s2, s2, __assert_fail@rel32@lo+4
	s_addc_u32 s3, s3, __assert_fail@rel32@hi+12
	s_swappc_b64 s[30:31], s[2:3]
	; divergent unreachable
.LBB2_598:
	s_or_b64 exec, exec, s[22:23]
	scratch_load_dword a55, off, s33        ; 4-byte Folded Reload
	scratch_load_dword a54, off, s33 offset:4 ; 4-byte Folded Reload
	scratch_load_dword a53, off, s33 offset:8 ; 4-byte Folded Reload
	;; [unrolled: 1-line block ×26, first 2 shown]
	s_waitcnt lgkmcnt(0)
	scratch_load_dword v59, off, s33 offset:108 ; 4-byte Folded Reload
	scratch_load_dword v58, off, s33 offset:112 ; 4-byte Folded Reload
	;; [unrolled: 1-line block ×12, first 2 shown]
	v_readlane_b32 s30, v63, 38
	v_readlane_b32 s31, v63, 39
	v_readlane_b32 s71, v63, 37
	v_readlane_b32 s70, v63, 36
	v_readlane_b32 s69, v63, 35
	v_readlane_b32 s68, v63, 34
	v_readlane_b32 s67, v63, 33
	v_readlane_b32 s66, v63, 32
	v_readlane_b32 s65, v63, 31
	v_readlane_b32 s64, v63, 30
	v_readlane_b32 s63, v63, 29
	v_readlane_b32 s62, v63, 28
	v_readlane_b32 s61, v63, 27
	v_readlane_b32 s60, v63, 26
	v_readlane_b32 s59, v63, 25
	v_readlane_b32 s58, v63, 24
	v_readlane_b32 s57, v63, 23
	v_readlane_b32 s56, v63, 22
	v_readlane_b32 s55, v63, 21
	v_readlane_b32 s54, v63, 20
	v_readlane_b32 s53, v63, 19
	v_readlane_b32 s52, v63, 18
	v_readlane_b32 s51, v63, 17
	v_readlane_b32 s50, v63, 16
	v_readlane_b32 s49, v63, 15
	v_readlane_b32 s48, v63, 14
	v_readlane_b32 s47, v63, 13
	v_readlane_b32 s46, v63, 12
	v_readlane_b32 s45, v63, 11
	v_readlane_b32 s44, v63, 10
	v_readlane_b32 s43, v63, 9
	v_readlane_b32 s42, v63, 8
	v_readlane_b32 s41, v63, 7
	v_readlane_b32 s40, v63, 6
	v_readlane_b32 s39, v63, 5
	v_readlane_b32 s38, v63, 4
	v_readlane_b32 s37, v63, 3
	v_readlane_b32 s36, v63, 2
	v_readlane_b32 s35, v63, 1
	v_readlane_b32 s34, v63, 0
	v_readlane_b32 s0, v63, 40
	s_or_saveexec_b64 s[2:3], -1
	scratch_load_dword v63, off, s33 offset:164 ; 4-byte Folded Reload
	s_mov_b64 exec, s[2:3]
	s_addk_i32 s32, 0xff50
	s_mov_b32 s33, s0
	s_waitcnt vmcnt(0)
	s_setpc_b64 s[30:31]
.Lfunc_end2:
	.size	_ZN12_GLOBAL__N_17runRingI19__hip_fp8_e5m2_fnuz13FuncPreMulSumIS1_E11ProtoSimpleILi1ELi1ELi0ELi1ELi0ELi0EELi0ELi1ELi0EEEviiP15ncclDevWorkColl, .Lfunc_end2-_ZN12_GLOBAL__N_17runRingI19__hip_fp8_e5m2_fnuz13FuncPreMulSumIS1_E11ProtoSimpleILi1ELi1ELi0ELi1ELi0ELi0EELi0ELi1ELi0EEEviiP15ncclDevWorkColl
                                        ; -- End function
	.section	.AMDGPU.csdata,"",@progbits
; Function info:
; codeLenInByte = 34204
; NumSgprs: 78
; NumVgprs: 64
; NumAgprs: 56
; TotalNumVgprs: 120
; ScratchSize: 240
; MemoryBound: 1
	.text
	.p2align	2                               ; -- Begin function _Z53ncclDevFunc_Reduce_RING_SIMPLE_PreMulSum_f8e5m2_0_0_1v
	.type	_Z53ncclDevFunc_Reduce_RING_SIMPLE_PreMulSum_f8e5m2_0_0_1v,@function
_Z53ncclDevFunc_Reduce_RING_SIMPLE_PreMulSum_f8e5m2_0_0_1v: ; @_Z53ncclDevFunc_Reduce_RING_SIMPLE_PreMulSum_f8e5m2_0_0_1v
; %bb.0:
	s_waitcnt vmcnt(0) expcnt(0) lgkmcnt(0)
	s_mov_b32 s0, s33
	s_mov_b32 s33, s32
	s_or_saveexec_b64 s[2:3], -1
	scratch_store_dword off, v43, s33 offset:16 ; 4-byte Folded Spill
	s_mov_b64 exec, s[2:3]
	v_writelane_b32 v43, s0, 48
	s_add_i32 s32, s32, 32
	scratch_store_dword off, v40, s33 offset:12 ; 4-byte Folded Spill
	scratch_store_dword off, v41, s33 offset:8 ; 4-byte Folded Spill
	;; [unrolled: 1-line block ×3, first 2 shown]
	scratch_store_dword off, v63, s33       ; 4-byte Folded Spill
	v_writelane_b32 v43, s34, 0
	v_writelane_b32 v43, s35, 1
	v_writelane_b32 v43, s36, 2
	v_writelane_b32 v43, s37, 3
	v_writelane_b32 v43, s38, 4
	v_writelane_b32 v43, s39, 5
	v_writelane_b32 v43, s40, 6
	v_writelane_b32 v43, s41, 7
	v_writelane_b32 v43, s42, 8
	v_writelane_b32 v43, s43, 9
	v_writelane_b32 v43, s44, 10
	v_writelane_b32 v43, s45, 11
	v_writelane_b32 v43, s46, 12
	v_writelane_b32 v43, s47, 13
	v_writelane_b32 v43, s48, 14
	v_writelane_b32 v43, s49, 15
	v_writelane_b32 v43, s50, 16
	v_writelane_b32 v43, s51, 17
	v_writelane_b32 v43, s52, 18
	v_writelane_b32 v43, s53, 19
	v_writelane_b32 v43, s54, 20
	v_writelane_b32 v43, s55, 21
	v_writelane_b32 v43, s56, 22
	v_writelane_b32 v43, s57, 23
	v_writelane_b32 v43, s58, 24
	v_writelane_b32 v43, s59, 25
	v_writelane_b32 v43, s60, 26
	v_writelane_b32 v43, s61, 27
	v_writelane_b32 v43, s62, 28
	v_writelane_b32 v43, s63, 29
	v_writelane_b32 v43, s64, 30
	v_writelane_b32 v43, s65, 31
	v_writelane_b32 v43, s66, 32
	v_writelane_b32 v43, s67, 33
	v_writelane_b32 v43, s68, 34
	v_writelane_b32 v43, s69, 35
	v_writelane_b32 v43, s70, 36
	v_writelane_b32 v43, s71, 37
	v_writelane_b32 v43, s72, 38
	v_writelane_b32 v43, s73, 39
	v_writelane_b32 v43, s74, 40
	v_writelane_b32 v43, s75, 41
	v_writelane_b32 v43, s76, 42
	v_writelane_b32 v43, s77, 43
	v_writelane_b32 v43, s78, 44
	v_writelane_b32 v43, s79, 45
	v_writelane_b32 v43, s30, 46
	s_nop 1
	v_writelane_b32 v43, s31, 47
	s_trap 2
	ds_read_b32 v0, v0
	v_mov_b32_e32 v40, v31
	v_and_b32_e32 v41, 0x3ff, v40
	s_mov_b32 s74, s12
	s_mov_b64 s[72:73], s[8:9]
	s_waitcnt lgkmcnt(0)
	v_cmp_lt_i32_e32 vcc, v41, v0
	s_and_saveexec_b64 s[0:1], vcc
	s_cbranch_execz .LBB3_5
; %bb.1:
	s_load_dword s2, s[72:73], 0x0
	v_mov_b32_e32 v1, 0
	s_mov_b32 s6, 0
	v_mov_b32_e32 v4, v41
                                        ; implicit-def: $vgpr2
	s_waitcnt lgkmcnt(0)
	s_cmp_lt_u32 s74, s2
	s_cselect_b32 s2, 12, 18
	s_add_u32 s2, s72, s2
	s_addc_u32 s3, s73, 0
	global_load_ushort v1, v1, s[2:3]
	s_trap 2
	ds_read_b32 v3, v0
	s_mov_b64 s[2:3], 0
	s_waitcnt vmcnt(0) lgkmcnt(0)
	v_mul_lo_u32 v3, v3, v1
	s_branch .LBB3_3
.LBB3_2:                                ;   in Loop: Header=BB3_3 Depth=1
	s_or_b64 exec, exec, s[4:5]
	v_add_u32_e32 v4, v4, v1
	v_cmp_ge_i32_e32 vcc, v4, v0
	s_or_b64 s[2:3], vcc, s[2:3]
	v_add_u32_e32 v2, v2, v3
	s_andn2_b64 exec, exec, s[2:3]
	s_cbranch_execz .LBB3_5
.LBB3_3:                                ; =>This Inner Loop Header: Depth=1
	ds_read_b32 v5, v2
	s_waitcnt lgkmcnt(0)
	v_and_b32_e32 v5, 0x1000000, v5
	v_cmp_ne_u32_e32 vcc, 0, v5
	s_and_saveexec_b64 s[4:5], vcc
	s_cbranch_execz .LBB3_2
; %bb.4:                                ;   in Loop: Header=BB3_3 Depth=1
	ds_read_b64 v[6:7], v2 offset:104
	s_waitcnt lgkmcnt(0)
	flat_load_ubyte v5, v[6:7]
	v_mov_b32_e32 v7, s6
	s_waitcnt vmcnt(0) lgkmcnt(0)
	v_and_b32_e32 v6, 0xffff, v5
	ds_write_b64 v2, v[6:7] offset:104
	s_branch .LBB3_2
.LBB3_5:
	s_or_b64 exec, exec, s[0:1]
	s_waitcnt lgkmcnt(0)
	s_barrier
	s_trap 2
	ds_read_b32 v0, v0
	s_waitcnt lgkmcnt(0)
	v_cmp_gt_i32_e32 vcc, 1, v0
	s_cbranch_vccnz .LBB3_13
; %bb.6:
	s_mov_b32 s75, 0
	s_mov_b64 s[76:77], src_shared_base
	v_mov_b32_e32 v42, 6
	s_branch .LBB3_8
.LBB3_7:                                ;   in Loop: Header=BB3_8 Depth=1
	s_or_b64 exec, exec, s[78:79]
	s_trap 2
	ds_read_b32 v0, v0
	s_add_i32 s75, s75, 1
	s_waitcnt lgkmcnt(0)
	v_cmp_lt_i32_e32 vcc, s75, v0
	s_cbranch_vccz .LBB3_13
.LBB3_8:                                ; =>This Inner Loop Header: Depth=1
	s_trap 2
	ds_read_b32 v0, v0
	s_cmp_eq_u32 s75, 0
	s_cbranch_scc1 .LBB3_11
; %bb.9:                                ;   in Loop: Header=BB3_8 Depth=1
	s_trap 2
	s_waitcnt lgkmcnt(0)
	ds_read_b32 v1, v0
	s_waitcnt lgkmcnt(0)
	v_xor_b32_e32 v1, v1, v0
	v_and_b32_e32 v1, 0xff0000, v1
	v_cmp_eq_u32_e32 vcc, 0, v1
	s_cbranch_vccnz .LBB3_11
; %bb.10:                               ;   in Loop: Header=BB3_8 Depth=1
	s_barrier
	ds_read_b32 v0, v0
.LBB3_11:                               ;   in Loop: Header=BB3_8 Depth=1
	s_waitcnt lgkmcnt(0)
	v_lshlrev_b32_sdwa v1, v42, v0 dst_sel:DWORD dst_unused:UNUSED_PAD src0_sel:DWORD src1_sel:BYTE_2
	v_cmp_lt_u32_e32 vcc, v41, v1
	s_and_saveexec_b64 s[78:79], vcc
	s_cbranch_execz .LBB3_7
; %bb.12:                               ;   in Loop: Header=BB3_8 Depth=1
	s_mov_b64 s[8:9], s[72:73]
	s_mov_b32 s12, s74
	v_mov_b32_e32 v31, v40
	v_mov_b32_e32 v0, v41
	;; [unrolled: 1-line block ×3, first 2 shown]
	s_getpc_b64 s[0:1]
	s_add_u32 s0, s0, _ZN12_GLOBAL__N_17runRingI19__hip_fp8_e5m2_fnuz13FuncPreMulSumIS1_E11ProtoSimpleILi1ELi1ELi0ELi1ELi0ELi0EELi0ELi1ELi0EEEviiP15ncclDevWorkColl@rel32@lo+4
	s_addc_u32 s1, s1, _ZN12_GLOBAL__N_17runRingI19__hip_fp8_e5m2_fnuz13FuncPreMulSumIS1_E11ProtoSimpleILi1ELi1ELi0ELi1ELi0ELi0EELi0ELi1ELi0EEEviiP15ncclDevWorkColl@rel32@hi+12
	s_swappc_b64 s[30:31], s[0:1]
	s_branch .LBB3_7
.LBB3_13:
	scratch_load_dword v63, off, s33        ; 4-byte Folded Reload
	scratch_load_dword v42, off, s33 offset:4 ; 4-byte Folded Reload
	scratch_load_dword v41, off, s33 offset:8 ; 4-byte Folded Reload
	scratch_load_dword v40, off, s33 offset:12 ; 4-byte Folded Reload
	v_readlane_b32 s30, v43, 46
	v_readlane_b32 s31, v43, 47
	;; [unrolled: 1-line block ×49, first 2 shown]
	s_or_saveexec_b64 s[2:3], -1
	scratch_load_dword v43, off, s33 offset:16 ; 4-byte Folded Reload
	s_mov_b64 exec, s[2:3]
	s_addk_i32 s32, 0xffe0
	s_mov_b32 s33, s0
	s_waitcnt vmcnt(0)
	s_setpc_b64 s[30:31]
.Lfunc_end3:
	.size	_Z53ncclDevFunc_Reduce_RING_SIMPLE_PreMulSum_f8e5m2_0_0_1v, .Lfunc_end3-_Z53ncclDevFunc_Reduce_RING_SIMPLE_PreMulSum_f8e5m2_0_0_1v
                                        ; -- End function
	.section	.AMDGPU.csdata,"",@progbits
; Function info:
; codeLenInByte = 1380
; NumSgprs: 86
; NumVgprs: 64
; NumAgprs: 56
; TotalNumVgprs: 120
; ScratchSize: 272
; MemoryBound: 0
	.text
	.p2align	2                               ; -- Begin function _ZN12_GLOBAL__N_17runRingI19__hip_fp8_e5m2_fnuz13FuncPreMulSumIS1_E11ProtoSimpleILi1ELi1ELi0ELi2ELi0ELi0EELi0ELi2ELi0EEEviiP15ncclDevWorkColl
	.type	_ZN12_GLOBAL__N_17runRingI19__hip_fp8_e5m2_fnuz13FuncPreMulSumIS1_E11ProtoSimpleILi1ELi1ELi0ELi2ELi0ELi0EELi0ELi2ELi0EEEviiP15ncclDevWorkColl,@function
_ZN12_GLOBAL__N_17runRingI19__hip_fp8_e5m2_fnuz13FuncPreMulSumIS1_E11ProtoSimpleILi1ELi1ELi0ELi2ELi0ELi0EELi0ELi2ELi0EEEviiP15ncclDevWorkColl: ; @_ZN12_GLOBAL__N_17runRingI19__hip_fp8_e5m2_fnuz13FuncPreMulSumIS1_E11ProtoSimpleILi1ELi1ELi0ELi2ELi0ELi0EELi0ELi2ELi0EEEviiP15ncclDevWorkColl
; %bb.0:
	s_waitcnt vmcnt(0) expcnt(0) lgkmcnt(0)
	s_mov_b32 s0, s33
	s_mov_b32 s33, s32
	s_or_saveexec_b64 s[2:3], -1
	scratch_store_dword off, v63, s33 offset:184 ; 4-byte Folded Spill
	s_mov_b64 exec, s[2:3]
	v_writelane_b32 v63, s0, 47
	s_addk_i32 s32, 0xc0
	scratch_store_dword off, v40, s33 offset:172 ; 4-byte Folded Spill
	scratch_store_dword off, v41, s33 offset:168 ; 4-byte Folded Spill
	;; [unrolled: 1-line block ×43, first 2 shown]
	scratch_store_dword off, a60, s33       ; 4-byte Folded Spill
	v_writelane_b32 v63, s34, 0
	v_writelane_b32 v63, s35, 1
	;; [unrolled: 1-line block ×46, first 2 shown]
	s_nop 1
	v_writelane_b32 v63, s31, 46
	s_trap 2
	ds_read_b64 v[14:15], v0
	ds_read_b32 v5, v0
	v_mov_b32_e32 v22, v1
	v_mov_b32_e32 v61, v0
	v_accvgpr_write_b32 a1, v31
	s_waitcnt lgkmcnt(1)
	v_ashrrev_i32_e32 v1, 31, v15
	v_mov_b32_e32 v0, v15
	v_lshlrev_b64 v[0:1], 2, v[0:1]
	v_lshl_add_u64 v[6:7], v[14:15], 0, v[0:1]
	v_add_co_u32_e32 v6, vcc, -4, v6
	flat_load_ushort v17, v[2:3] offset:8
	flat_load_dwordx2 v[0:1], v[2:3]
	v_addc_co_u32_e32 v7, vcc, -1, v7, vcc
	flat_load_dword v4, v[6:7]
                                        ; implicit-def: $vgpr18_vgpr19
                                        ; implicit-def: $vgpr24_vgpr25
                                        ; implicit-def: $vgpr58_vgpr59
	s_waitcnt vmcnt(0) lgkmcnt(0)
	v_mov_b32_e32 v16, v1
	v_cmp_ne_u32_sdwa s[0:1], v0, v5 src0_sel:BYTE_0 src1_sel:DWORD
	s_and_saveexec_b64 s[2:3], s[0:1]
	s_xor_b64 s[0:1], exec, s[2:3]
	s_cbranch_execz .LBB4_6
; %bb.1:
	v_not_b32_sdwa v1, v0 dst_sel:DWORD dst_unused:UNUSED_PAD src0_sel:BYTE_0
	v_cmp_ne_u32_sdwa s[2:3], v0, v5 src0_sel:BYTE_1 src1_sel:DWORD
                                        ; implicit-def: $vgpr18_vgpr19
                                        ; implicit-def: $vgpr24_vgpr25
                                        ; implicit-def: $vgpr58_vgpr59
	s_and_saveexec_b64 s[4:5], s[2:3]
	s_xor_b64 s[2:3], exec, s[4:5]
	s_cbranch_execz .LBB4_3
; %bb.2:
	flat_load_dwordx4 v[6:9], v[2:3] offset:72
	flat_load_dwordx2 v[10:11], v[2:3] offset:96
	v_add_u32_e32 v0, v5, v1
	v_ashrrev_i32_e32 v1, 31, v0
	s_waitcnt vmcnt(0) lgkmcnt(0)
	v_mul_lo_u32 v1, v8, v1
	v_mad_u64_u32 v[58:59], s[4:5], v8, v0, v[6:7]
	v_mul_lo_u32 v0, v9, v0
	v_lshrrev_b64 v[18:19], 12, v[10:11]
	v_add3_u32 v59, v0, v59, v1
	v_mov_b64_e32 v[24:25], v[8:9]
                                        ; implicit-def: $vgpr0
                                        ; implicit-def: $vgpr1
.LBB4_3:
	s_andn2_saveexec_b64 s[2:3], s[2:3]
	s_cbranch_execz .LBB4_5
; %bb.4:
	flat_load_dwordx4 v[6:9], v[2:3] offset:72
	flat_load_dwordx4 v[24:27], v[2:3] offset:88
	v_add_u32_sdwa v0, v0, v1 dst_sel:DWORD dst_unused:UNUSED_PAD src0_sel:BYTE_1 src1_sel:DWORD
	v_ashrrev_i32_e32 v1, 31, v0
	s_waitcnt vmcnt(0) lgkmcnt(0)
	v_mul_lo_u32 v1, v8, v1
	v_mad_u64_u32 v[58:59], s[4:5], v8, v0, v[6:7]
	v_mul_lo_u32 v0, v9, v0
	v_add3_u32 v59, v0, v59, v1
	v_lshrrev_b32_e32 v18, 1, v27
.LBB4_5:
	s_or_b64 exec, exec, s[2:3]
.LBB4_6:
	s_andn2_saveexec_b64 s[0:1], s[0:1]
	s_cbranch_execz .LBB4_8
; %bb.7:
	flat_load_dwordx2 v[0:1], v[2:3] offset:96
	flat_load_dwordx2 v[24:25], v[2:3] offset:72
	v_mov_b64_e32 v[58:59], 0
	s_waitcnt vmcnt(0) lgkmcnt(0)
	v_lshlrev_b64 v[18:19], 9, v[0:1]
.LBB4_8:
	s_or_b64 exec, exec, s[0:1]
	s_trap 2
	ds_read_b64 v[0:1], v0
	s_waitcnt lgkmcnt(0)
	v_cmp_ne_u32_e32 vcc, -1, v0
	s_nop 1
	v_cndmask_b32_e64 v0, 0, 1, vcc
	v_cmp_ne_u32_e32 vcc, -1, v1
	s_nop 1
	v_addc_co_u32_e64 v1, s[0:1], 0, v0, vcc
	v_lshlrev_b32_e32 v5, 1, v1
	v_cmp_le_i32_e64 s[0:1], v5, v22
	s_and_saveexec_b64 s[2:3], s[0:1]
	s_xor_b64 s[44:45], exec, s[2:3]
	s_cbranch_execz .LBB4_600
; %bb.9:
	flat_load_dwordx4 v[10:13], v[2:3] offset:16
	flat_load_dwordx2 v[20:21], v[2:3] offset:104
	s_trap 2
	s_load_dword s0, s[8:9], 0x0
	v_mov_b32_e32 v2, 0
	v_mov_b32_e32 v62, 4
	s_waitcnt lgkmcnt(0)
	s_cmp_lt_u32 s12, s0
	s_cselect_b32 s0, 12, 18
	s_add_u32 s0, s8, s0
	s_addc_u32 s1, s9, 0
	global_load_ushort a2, v2, s[0:1]
	ds_read_b32 v2, v0
	v_cmp_ge_i32_e64 s[0:1], v61, v0
	s_waitcnt lgkmcnt(0)
	v_readfirstlane_b32 s60, v2
	s_and_saveexec_b64 s[2:3], s[0:1]
	s_cbranch_execz .LBB4_19
; %bb.10:
	v_cmp_le_u32_e64 s[0:1], v1, v61
                                        ; implicit-def: $vgpr62
	s_and_saveexec_b64 s[4:5], s[0:1]
	s_xor_b64 s[0:1], exec, s[4:5]
	s_cbranch_execz .LBB4_16
; %bb.11:
	v_cndmask_b32_e64 v2, 0, 1, vcc
	v_sub_u32_e32 v2, v22, v2
	v_cmp_ge_u32_e32 vcc, v61, v2
                                        ; implicit-def: $sgpr6
	s_and_saveexec_b64 s[4:5], vcc
	s_xor_b64 s[4:5], exec, s[4:5]
; %bb.12:
	s_mov_b32 s6, 16
                                        ; implicit-def: $vgpr1
; %bb.13:
	s_or_saveexec_b64 s[4:5], s[4:5]
	v_mov_b32_e32 v62, s6
	s_xor_b64 exec, exec, s[4:5]
; %bb.14:
	v_sub_u32_e32 v1, v22, v1
	v_cmp_ge_i32_e32 vcc, v61, v1
	s_nop 1
	v_cndmask_b32_e64 v1, 0, 1, vcc
	v_lshlrev_b32_e32 v62, 5, v1
; %bb.15:
	s_or_b64 exec, exec, s[4:5]
.LBB4_16:
	s_andn2_saveexec_b64 s[0:1], s[0:1]
; %bb.17:
	v_mov_b32_e32 v62, 8
; %bb.18:
	s_or_b64 exec, exec, s[0:1]
.LBB4_19:
	s_or_b64 exec, exec, s[2:3]
	v_and_b32_e32 v1, 36, v62
	v_cmp_ne_u32_e32 vcc, 0, v1
	v_mov_b32_e32 v2, -1
	s_and_saveexec_b64 s[0:1], vcc
	s_cbranch_execz .LBB4_21
; %bb.20:
	s_trap 2
	ds_read_b32 v2, v0
.LBB4_21:
	s_or_b64 exec, exec, s[0:1]
	v_and_b32_e32 v1, 24, v62
	v_cmp_ne_u32_e64 s[0:1], 0, v1
	s_and_saveexec_b64 s[2:3], s[0:1]
	s_cbranch_execz .LBB4_23
; %bb.22:
	s_trap 2
	s_waitcnt lgkmcnt(0)
	ds_read_b32 v2, v0
.LBB4_23:
	s_or_b64 exec, exec, s[2:3]
	v_lshrrev_b64 v[6:7], 31, v[16:17]
	v_mov_b64_e32 v[26:27], 0
	v_and_b32_e32 v1, 3, v6
	s_waitcnt lgkmcnt(0)
	v_ashrrev_i32_e32 v3, 31, v2
	v_mov_b64_e32 v[32:33], v[26:27]
                                        ; implicit-def: $agpr10_agpr11
                                        ; implicit-def: $vgpr36
                                        ; implicit-def: $vgpr50_vgpr51
                                        ; implicit-def: $vgpr48_vgpr49
                                        ; implicit-def: $vgpr28_vgpr29
	s_and_saveexec_b64 s[0:1], vcc
	s_cbranch_execz .LBB4_33
; %bb.24:
	s_trap 2
	ds_read_b64 v[6:7], v0
	v_and_b32_e32 v5, 0xffff, v1
	s_movk_i32 s2, 0xa8
                                        ; implicit-def: $agpr10_agpr11
	s_waitcnt lgkmcnt(0)
	v_lshl_add_u64 v[6:7], v[2:3], 3, v[6:7]
	flat_load_dwordx2 v[6:7], v[6:7]
	s_waitcnt vmcnt(0) lgkmcnt(0)
	v_mad_u64_u32 v[6:7], s[2:3], v5, s2, v[6:7]
	flat_load_dword v5, v[6:7] offset:640
	s_mov_b64 s[2:3], 0x1f8
	v_lshl_add_u64 v[26:27], v[6:7], 0, s[2:3]
	s_waitcnt vmcnt(0) lgkmcnt(0)
	v_cmp_eq_u32_e32 vcc, 1, v5
	s_and_saveexec_b64 s[2:3], vcc
	s_cbranch_execz .LBB4_26
; %bb.25:
	flat_load_dwordx2 v[8:9], v[26:27] offset:144
	v_or_b32_e32 v62, 0x2000, v62
	s_waitcnt vmcnt(0) lgkmcnt(0)
	flat_load_dwordx2 v[6:7], v[8:9]
	s_trap 2
	v_accvgpr_write_b32 a11, v9
	v_accvgpr_write_b32 a10, v8
	s_waitcnt vmcnt(0) lgkmcnt(0)
	ds_write_b64 v0, v[6:7]
	flat_load_dwordx2 v[6:7], v[8:9] offset:8
	s_waitcnt vmcnt(0) lgkmcnt(0)
	ds_write_b64 v0, v[6:7]
	flat_load_dwordx2 v[6:7], v[8:9] offset:16
	s_waitcnt vmcnt(0) lgkmcnt(0)
	ds_write_b64 v0, v[6:7]
.LBB4_26:
	s_or_b64 exec, exec, s[2:3]
	flat_load_dwordx2 v[34:35], v[26:27] offset:104
	v_and_b32_e32 v5, 32, v62
	v_cmp_ne_u32_e32 vcc, 0, v5
                                        ; implicit-def: $vgpr28_vgpr29
	s_and_saveexec_b64 s[2:3], vcc
	s_cbranch_execz .LBB4_28
; %bb.27:
	flat_load_dwordx2 v[28:29], v[26:27] offset:56
	s_waitcnt vmcnt(0) lgkmcnt(0)
	flat_store_dwordx2 v[28:29], v[34:35] sc0 sc1
.LBB4_28:
	s_or_b64 exec, exec, s[2:3]
	v_and_b32_e32 v5, 4, v62
	v_cmp_ne_u32_e32 vcc, 0, v5
	v_mov_b64_e32 v[32:33], 0
                                        ; implicit-def: $vgpr36
                                        ; implicit-def: $vgpr50_vgpr51
                                        ; implicit-def: $vgpr48_vgpr49
	s_and_saveexec_b64 s[2:3], vcc
	s_cbranch_execz .LBB4_32
; %bb.29:
	v_and_b32_e32 v5, 0x800, v62
	v_cmp_eq_u32_e32 vcc, 0, v5
	s_and_saveexec_b64 s[4:5], vcc
	s_cbranch_execz .LBB4_31
; %bb.30:
	s_trap 2
	ds_write_b64 v0, v[26:27]
.LBB4_31:
	s_or_b64 exec, exec, s[4:5]
	flat_load_dwordx2 v[28:29], v[26:27] offset:48
	v_or_b32_e32 v5, 0x100, v62
	s_waitcnt vmcnt(0) lgkmcnt(0)
	flat_load_dwordx2 v[50:51], v[28:29] sc0 sc1
	flat_load_dwordx2 v[32:33], v[26:27] offset:96
	flat_load_dword v36, v[26:27] offset:72
	flat_load_dwordx2 v[48:49], v[26:27] offset:16
	s_waitcnt vmcnt(0) lgkmcnt(0)
	v_cmp_eq_u64_e32 vcc, 0, v[32:33]
	s_nop 1
	v_cndmask_b32_e32 v62, v5, v62, vcc
.LBB4_32:
	s_or_b64 exec, exec, s[2:3]
.LBB4_33:
	s_or_b64 exec, exec, s[0:1]
	v_and_b32_e32 v5, 24, v62
	v_cmp_ne_u32_e32 vcc, 0, v5
                                        ; implicit-def: $vgpr52_vgpr53
	s_and_saveexec_b64 s[0:1], vcc
	s_cbranch_execz .LBB4_41
; %bb.34:
	s_trap 2
	ds_read_b64 v[6:7], v0
	v_and_b32_e32 v1, 0xffff, v1
	s_movk_i32 s2, 0xa8
                                        ; implicit-def: $vgpr52_vgpr53
	s_waitcnt lgkmcnt(0)
	v_lshl_add_u64 v[2:3], v[2:3], 3, v[6:7]
	flat_load_dwordx2 v[2:3], v[2:3]
	s_waitcnt vmcnt(0) lgkmcnt(0)
	v_mad_u64_u32 v[26:27], s[2:3], v1, s2, v[2:3]
	flat_load_dwordx4 v[32:35], v[26:27] offset:96
	v_or_b32_e32 v1, 0x100, v62
	s_waitcnt vmcnt(0) lgkmcnt(0)
	v_cmp_eq_u64_e32 vcc, 0, v[32:33]
	s_nop 1
	v_cndmask_b32_e32 v62, v1, v62, vcc
	v_and_b32_e32 v1, 16, v62
	v_cmp_ne_u32_e32 vcc, 0, v1
	s_and_saveexec_b64 s[2:3], vcc
	s_cbranch_execz .LBB4_36
; %bb.35:
	flat_load_dwordx2 v[52:53], v[26:27] offset:120
	flat_load_dwordx2 v[28:29], v[26:27] offset:48
	;; [unrolled: 1-line block ×3, first 2 shown]
.LBB4_36:
	s_or_b64 exec, exec, s[2:3]
	v_and_b32_e32 v1, 8, v62
	v_cmp_ne_u32_e32 vcc, 0, v1
	s_and_saveexec_b64 s[2:3], vcc
	s_cbranch_execz .LBB4_40
; %bb.37:
	v_and_b32_e32 v1, 0x800, v62
	v_cmp_eq_u32_e32 vcc, 0, v1
	s_and_saveexec_b64 s[4:5], vcc
	s_cbranch_execz .LBB4_39
; %bb.38:
	s_trap 2
	ds_write_b64 v0, v[26:27]
.LBB4_39:
	s_or_b64 exec, exec, s[4:5]
	s_waitcnt vmcnt(0) lgkmcnt(0)
	flat_load_dwordx2 v[28:29], v[26:27] offset:56
	s_waitcnt vmcnt(0) lgkmcnt(0)
	flat_load_dwordx2 v[50:51], v[28:29] sc0 sc1
	flat_load_dword v36, v[26:27] offset:72
	flat_load_dwordx2 v[48:49], v[26:27] offset:16
.LBB4_40:
	s_or_b64 exec, exec, s[2:3]
.LBB4_41:
	s_or_b64 exec, exec, s[0:1]
	v_cmp_eq_u32_e64 s[0:1], 0, v61
	s_and_saveexec_b64 s[2:3], s[0:1]
	s_cbranch_execz .LBB4_43
; %bb.42:
	s_waitcnt vmcnt(0)
	v_mov_b32_e32 v2, v12
	v_mov_b32_e32 v3, v13
	;; [unrolled: 1-line block ×4, first 2 shown]
	ds_write2_b64 v0, v[2:3], v[6:7] offset1:1
	v_mov_b32_e32 v2, 0
	v_mov_b32_e32 v3, v2
	s_trap 2
	ds_write_b64 v0, v[2:3]
	ds_write_b64 v0, v[20:21]
.LBB4_43:
	s_or_b64 exec, exec, s[2:3]
	v_and_b32_e32 v18, 0x3ffffe00, v18
	v_mov_b32_e32 v19, 0
	v_bfe_u32 v1, v16, 1, 30
	v_cmp_ne_u32_e32 vcc, v4, v1
                                        ; implicit-def: $vgpr16_vgpr17
	s_mov_b64 s[2:3], exec
	s_and_b64 s[4:5], s[2:3], vcc
	v_accvgpr_write_b32 a12, v26
	s_xor_b64 s[20:21], s[4:5], s[2:3]
	v_accvgpr_write_b32 a0, v22
	v_accvgpr_write_b32 a13, v27
	s_mov_b64 exec, s[4:5]
	s_cbranch_execz .LBB4_391
; %bb.44:
	v_cmp_ne_u32_e32 vcc, v14, v1
	v_cmp_ne_u64_e64 s[2:3], 0, v[24:25]
                                        ; implicit-def: $vgpr16_vgpr17
	s_and_saveexec_b64 s[4:5], vcc
	s_xor_b64 s[22:23], exec, s[4:5]
	s_cbranch_execz .LBB4_221
; %bb.45:
	v_mov_b64_e32 v[16:17], 0
	s_and_saveexec_b64 s[24:25], s[2:3]
	s_cbranch_execz .LBB4_220
; %bb.46:
	s_waitcnt vmcnt(0)
	v_accvgpr_read_b32 v1, a2
	v_cmp_ne_u32_sdwa s[26:27], v1, v22 src0_sel:WORD_0 src1_sel:DWORD
	v_accvgpr_read_b32 v1, a1
	v_and_b32_e32 v1, 63, v1
	v_cmp_eq_u32_e64 s[10:11], 0, v1
	v_ashrrev_i32_e32 v1, 31, v61
	v_lshrrev_b32_e32 v1, 26, v1
	v_add_u32_e32 v1, v61, v1
	v_and_b32_e32 v2, 0xffffffc0, v1
	v_sub_u32_e32 v2, v61, v2
	v_ashrrev_i32_e32 v14, 6, v1
	v_cmp_le_i32_e64 s[12:13], v2, v0
	v_cmp_lt_i32_e64 s[14:15], v2, v0
	v_lshlrev_b32_e32 v0, 11, v14
	v_lshl_add_u32 v0, v2, 4, v0
	v_ashrrev_i32_e32 v1, 31, v0
	v_accvgpr_write_b32 a35, v1
	v_lshrrev_b32_e32 v20, 6, v22
	v_accvgpr_write_b32 a34, v0
	v_mov_b32_e32 v0, 0xfffff800
	v_lshl_add_u32 v0, v20, 11, v0
	s_ashr_i32 s4, s60, 31
	v_ashrrev_i32_e32 v1, 31, v0
	s_mov_b64 s[16:17], 0x800
	v_lshlrev_b32_e32 v23, 10, v20
	v_and_b32_e32 v40, 0xffffffc0, v22
	s_lshr_b32 s4, s4, 24
	v_lshl_add_u64 v[54:55], v[0:1], 0, s[16:17]
	v_add_u32_e32 v0, 0xfffffc00, v23
	v_ashrrev_i32_e32 v41, 31, v40
	s_add_i32 s4, s60, s4
	s_waitcnt lgkmcnt(0)
	v_ashrrev_i32_e32 v15, 31, v36
	v_cmp_eq_u32_e32 vcc, 64, v22
	v_mov_b32_e32 v31, 0
	v_ashrrev_i32_e32 v1, 31, v0
	s_mov_b64 s[16:17], 0x400
	v_mov_b64_e32 v[42:43], 0
	v_accvgpr_write_b32 a6, v24
	v_accvgpr_write_b32 a8, v58
	v_accvgpr_write_b32 a18, v28
	v_accvgpr_write_b32 a22, v48
	v_accvgpr_write_b32 a29, v19
	v_accvgpr_write_b32 a30, v52
	v_accvgpr_write_b32 a43, v41
	s_ashr_i32 s61, s4, 8
	v_cmp_ge_i32_e64 s[4:5], v61, v22
	v_cmp_ne_u32_e64 s[6:7], 64, v22
	v_mov_b32_e32 v21, v31
	v_accvgpr_write_b32 a32, v2
	v_lshl_add_u64 v[6:7], v[0:1], 0, s[16:17]
	s_mov_b64 s[28:29], 0
	v_cmp_eq_u64_e64 s[16:17], 0, v[52:53]
	s_movk_i32 s62, 0x270e
	s_movk_i32 s63, 0x108
	v_mov_b32_e32 v37, 1
	s_xor_b64 s[30:31], vcc, -1
	s_mov_b32 s64, 0x7f800000
	s_mov_b32 s65, 0x47600000
	;; [unrolled: 1-line block ×3, first 2 shown]
	s_mov_b64 s[34:35], 0x3c0
	s_movk_i32 s67, 0xfc40
	s_movk_i32 s68, 0xfc80
	;; [unrolled: 1-line block ×11, first 2 shown]
	v_mov_b32_e32 v47, 0xc7600000
	v_mov_b64_e32 v[16:17], v[42:43]
	v_accvgpr_write_b32 a3, v61
	v_accvgpr_write_b32 a7, v25
	;; [unrolled: 1-line block ×12, first 2 shown]
	s_trap 2
	s_branch .LBB4_49
.LBB4_47:                               ;   in Loop: Header=BB4_49 Depth=1
	s_or_b64 exec, exec, s[18:19]
.LBB4_48:                               ;   in Loop: Header=BB4_49 Depth=1
	s_or_b64 exec, exec, s[38:39]
	v_lshl_add_u64 v[42:43], v[42:43], 0, v[18:19]
	v_cmp_ge_u64_e32 vcc, v[42:43], v[24:25]
	s_or_b64 s[28:29], vcc, s[28:29]
	s_andn2_b64 exec, exec, s[28:29]
	s_cbranch_execz .LBB4_219
.LBB4_49:                               ; =>This Loop Header: Depth=1
                                        ;     Child Loop BB4_58 Depth 2
                                        ;     Child Loop BB4_84 Depth 2
	;; [unrolled: 1-line block ×10, first 2 shown]
	v_sub_co_u32_e32 v0, vcc, v24, v42
	s_nop 1
	v_subb_co_u32_e32 v1, vcc, v25, v43, vcc
	v_cmp_lt_u64_e32 vcc, v[18:19], v[0:1]
	s_nop 1
	v_cndmask_b32_e64 v45, v1, 0, vcc
	v_cndmask_b32_e32 v44, v0, v18, vcc
	v_add_u32_e32 v0, 15, v44
	v_cmp_eq_u64_e32 vcc, 0, v[44:45]
	v_and_b32_e32 v0, 0x7ffffff0, v0
	s_or_b64 s[36:37], s[4:5], vcc
	v_max_i32_e32 v56, s61, v0
	s_xor_b64 s[18:19], s[36:37], -1
	v_mov_b32_e32 v0, 0
	s_and_saveexec_b64 s[38:39], s[18:19]
	s_cbranch_execz .LBB4_169
; %bb.50:                               ;   in Loop: Header=BB4_49 Depth=1
	s_and_saveexec_b64 s[18:19], s[0:1]
	s_cbranch_execz .LBB4_52
; %bb.51:                               ;   in Loop: Header=BB4_49 Depth=1
	s_trap 2
	ds_read_b64 v[0:1], v0
	v_mov_b32_e32 v30, v31
	s_waitcnt lgkmcnt(0)
	v_lshl_add_u64 v[0:1], v[0:1], 0, v[58:59]
	v_lshl_add_u64 v[0:1], v[0:1], 0, v[42:43]
	ds_write_b64 v0, v[0:1]
	ds_write_b64 v0, v[30:31]
.LBB4_52:                               ;   in Loop: Header=BB4_49 Depth=1
	s_or_b64 exec, exec, s[18:19]
	v_and_b32_e32 v0, 12, v62
	v_cmp_ne_u32_e32 vcc, 0, v0
	s_mov_b64 s[40:41], -1
	v_lshl_add_u64 v[10:11], v[34:35], 0, 1
	s_and_saveexec_b64 s[18:19], vcc
	s_cbranch_execz .LBB4_64
; %bb.53:                               ;   in Loop: Header=BB4_49 Depth=1
	v_and_b32_e32 v30, 8, v62
	v_lshl_add_u64 v[0:1], v[50:51], 0, v[30:31]
	v_lshl_add_u64 v[12:13], v[34:35], 0, 1
	v_cmp_lt_u64_e32 vcc, v[0:1], v[12:13]
	v_mov_b32_e32 v0, 1
	s_and_saveexec_b64 s[40:41], vcc
	s_cbranch_execz .LBB4_63
; %bb.54:                               ;   in Loop: Header=BB4_49 Depth=1
	s_mov_b64 s[42:43], 0
	v_mov_b32_e32 v0, 0
                                        ; implicit-def: $sgpr46_sgpr47
	s_branch .LBB4_58
.LBB4_55:                               ;   in Loop: Header=BB4_58 Depth=2
	s_or_b64 exec, exec, s[54:55]
	v_mov_b32_e32 v1, 0
	s_orn2_b64 s[52:53], s[52:53], exec
.LBB4_56:                               ;   in Loop: Header=BB4_58 Depth=2
	s_or_b64 exec, exec, s[50:51]
	s_andn2_b64 vcc, s[46:47], exec
	s_and_b64 s[46:47], s[52:53], exec
	s_or_b64 s[46:47], vcc, s[46:47]
	v_mov_b32_e32 v0, v1
.LBB4_57:                               ;   in Loop: Header=BB4_58 Depth=2
	s_or_b64 exec, exec, s[48:49]
	s_waitcnt vmcnt(0) lgkmcnt(0)
	v_lshl_add_u64 v[2:3], v[50:51], 0, v[30:31]
	v_cmp_ge_u64_e32 vcc, v[2:3], v[12:13]
	s_xor_b64 s[48:49], s[46:47], -1
	s_or_b64 vcc, s[48:49], vcc
	s_and_b64 vcc, exec, vcc
	s_or_b64 s[42:43], vcc, s[42:43]
	s_andn2_b64 exec, exec, s[42:43]
	s_cbranch_execz .LBB4_62
.LBB4_58:                               ;   Parent Loop BB4_49 Depth=1
                                        ; =>  This Inner Loop Header: Depth=2
	s_sleep 1
	flat_load_dwordx2 v[50:51], v[28:29] sc0 sc1
	v_and_b32_e32 v1, 64, v62
	v_cmp_eq_u32_e32 vcc, 0, v1
	s_andn2_b64 s[46:47], s[46:47], exec
	s_and_saveexec_b64 s[48:49], vcc
	s_cbranch_execz .LBB4_57
; %bb.59:                               ;   in Loop: Header=BB4_58 Depth=2
	v_add_u32_e32 v1, 1, v0
	v_cmp_lt_i32_e32 vcc, s62, v0
	s_mov_b64 s[52:53], -1
	s_and_saveexec_b64 s[50:51], vcc
	s_cbranch_execz .LBB4_56
; %bb.60:                               ;   in Loop: Header=BB4_58 Depth=2
	s_trap 2
	ds_read_b64 v[0:1], v0
	s_waitcnt vmcnt(0) lgkmcnt(0)
	flat_load_dword v0, v[0:1] sc0 sc1
	s_waitcnt vmcnt(0) lgkmcnt(0)
	buffer_inv sc0 sc1
	v_cmp_ne_u32_e32 vcc, 0, v0
	s_and_saveexec_b64 s[54:55], vcc
	s_cbranch_execz .LBB4_55
; %bb.61:                               ;   in Loop: Header=BB4_58 Depth=2
	v_or_b32_e32 v62, 64, v62
	s_xor_b64 s[52:53], exec, -1
	ds_write_b32 v0, v0
	s_trap 2
	s_branch .LBB4_55
.LBB4_62:                               ;   in Loop: Header=BB4_49 Depth=1
	s_or_b64 exec, exec, s[42:43]
	v_and_b32_e32 v0, 12, v62
.LBB4_63:                               ;   in Loop: Header=BB4_49 Depth=1
	s_or_b64 exec, exec, s[40:41]
	v_cmp_eq_u32_e32 vcc, 0, v0
	s_orn2_b64 s[40:41], vcc, exec
	;;#ASMSTART
	s_wakeup
	;;#ASMEND
.LBB4_64:                               ;   in Loop: Header=BB4_49 Depth=1
	s_or_b64 exec, exec, s[18:19]
	s_xor_b64 s[18:19], s[40:41], -1
	v_min_u32_e32 v56, v56, v44
	s_and_saveexec_b64 s[40:41], s[18:19]
	s_cbranch_execz .LBB4_76
; %bb.65:                               ;   in Loop: Header=BB4_49 Depth=1
	v_and_b32_e32 v0, 0x108, v62
	v_cmp_ne_u32_e32 vcc, s63, v0
	v_and_b32_e32 v0, 7, v34
	s_and_saveexec_b64 s[18:19], vcc
	s_xor_b64 s[18:19], exec, s[18:19]
	s_andn2_saveexec_b64 s[18:19], s[18:19]
	s_cbranch_execz .LBB4_67
; %bb.66:                               ;   in Loop: Header=BB4_49 Depth=1
	v_mad_u64_u32 v[2:3], vcc, v0, 24, v[32:33]
	v_mov_b32_e32 v57, v31
	flat_store_dwordx2 v[2:3], v[56:57] offset:8
.LBB4_67:                               ;   in Loop: Header=BB4_49 Depth=1
	s_or_b64 exec, exec, s[18:19]
	v_and_b32_e32 v1, 0x100, v62
	v_cmp_ne_u32_e32 vcc, 0, v1
	s_mov_b64 s[18:19], -1
                                        ; implicit-def: $vgpr8_vgpr9
	s_and_saveexec_b64 s[42:43], vcc
	s_cbranch_execz .LBB4_71
; %bb.68:                               ;   in Loop: Header=BB4_49 Depth=1
	v_mad_u64_u32 v[12:13], s[18:19], v0, 24, v[32:33]
	v_mov_b32_e32 v2, v13
	v_mad_u64_u32 v[2:3], s[18:19], v31, 24, v[2:3]
	v_mov_b32_e32 v13, v2
	flat_load_dword v1, v[12:13]
                                        ; implicit-def: $vgpr8_vgpr9
	s_waitcnt vmcnt(0) lgkmcnt(0)
	v_cmp_ne_u32_e32 vcc, 1, v1
	v_cmp_eq_u32_e64 s[18:19], 1, v1
	s_and_saveexec_b64 s[46:47], s[18:19]
	s_cbranch_execz .LBB4_70
; %bb.69:                               ;   in Loop: Header=BB4_49 Depth=1
	flat_load_dword v8, v[12:13] offset:4 sc0 sc1
	s_waitcnt vmcnt(0) lgkmcnt(0)
	v_ashrrev_i32_e32 v9, 31, v8
.LBB4_70:                               ;   in Loop: Header=BB4_49 Depth=1
	s_or_b64 exec, exec, s[46:47]
	s_orn2_b64 s[18:19], vcc, exec
.LBB4_71:                               ;   in Loop: Header=BB4_49 Depth=1
	s_or_b64 exec, exec, s[42:43]
	s_and_saveexec_b64 vcc, s[18:19]
; %bb.72:                               ;   in Loop: Header=BB4_49 Depth=1
	v_mul_lo_u32 v1, v31, v36
	v_mul_lo_u32 v2, v0, v15
	v_mad_u64_u32 v[8:9], s[18:19], v0, v36, 0
	v_add3_u32 v9, v9, v2, v1
; %bb.73:                               ;   in Loop: Header=BB4_49 Depth=1
	s_or_b64 exec, exec, vcc
	v_lshl_add_u64 v[0:1], v[48:49], 0, v[8:9]
	s_trap 2
	ds_write_b64 v0, v[0:1]
	v_and_b32_e32 v0, 0x2000, v62
	v_cmp_ne_u32_e32 vcc, 0, v0
	s_and_saveexec_b64 s[18:19], vcc
	s_cbranch_execz .LBB4_75
; %bb.74:                               ;   in Loop: Header=BB4_49 Depth=1
	ds_read_b64 v[0:1], v0 offset:584
	s_waitcnt lgkmcnt(0)
	v_lshl_add_u64 v[0:1], v[0:1], 0, 1
	ds_write_b64 v0, v[0:1] offset:584
.LBB4_75:                               ;   in Loop: Header=BB4_49 Depth=1
	s_or_b64 exec, exec, s[18:19]
	v_mov_b64_e32 v[34:35], v[10:11]
.LBB4_76:                               ;   in Loop: Header=BB4_49 Depth=1
	s_or_b64 exec, exec, s[40:41]
	s_and_saveexec_b64 s[18:19], s[6:7]
	s_cbranch_execz .LBB4_95
; %bb.77:                               ;   in Loop: Header=BB4_49 Depth=1
	s_and_saveexec_b64 vcc, s[26:27]
	s_xor_b64 s[40:41], exec, vcc
	s_cbranch_execz .LBB4_92
; %bb.78:                               ;   in Loop: Header=BB4_49 Depth=1
	s_and_saveexec_b64 s[42:43], s[10:11]
	s_cbranch_execz .LBB4_91
; %bb.79:                               ;   in Loop: Header=BB4_49 Depth=1
	s_mov_b64 s[48:49], exec
	v_mbcnt_lo_u32_b32 v0, s48, 0
	v_mbcnt_hi_u32_b32 v0, s49, v0
	v_cmp_eq_u32_e32 vcc, 0, v0
	s_waitcnt lgkmcnt(0)
	s_and_saveexec_b64 s[46:47], vcc
	s_cbranch_execz .LBB4_81
; %bb.80:                               ;   in Loop: Header=BB4_49 Depth=1
	s_bcnt1_i32_b64 vcc_lo, s[48:49]
	v_mov_b32_e32 v30, vcc_lo
	ds_add_u64 v0, v[30:31]
	s_trap 2
.LBB4_81:                               ;   in Loop: Header=BB4_49 Depth=1
	s_or_b64 exec, exec, s[46:47]
	s_trap 2
	ds_read_b64 v[0:1], v0
	v_lshl_add_u64 v[16:17], v[16:17], 0, v[20:21]
	s_waitcnt lgkmcnt(0)
	v_cmp_lt_u64_e32 vcc, v[0:1], v[16:17]
	s_and_saveexec_b64 s[46:47], vcc
	s_cbranch_execz .LBB4_90
; %bb.82:                               ;   in Loop: Header=BB4_49 Depth=1
	s_mov_b32 s58, 0
	s_mov_b64 s[48:49], 0
                                        ; implicit-def: $sgpr50_sgpr51
                                        ; implicit-def: $sgpr52_sgpr53
	s_branch .LBB4_84
.LBB4_83:                               ;   in Loop: Header=BB4_84 Depth=2
	s_or_b64 exec, exec, s[56:57]
	s_and_b64 vcc, exec, vcc
	s_or_b64 s[48:49], vcc, s[48:49]
	s_andn2_b64 vcc, s[50:51], exec
	s_and_b64 s[50:51], s[52:53], exec
	s_or_b64 s[50:51], vcc, s[50:51]
	s_andn2_b64 exec, exec, s[48:49]
	s_cbranch_execz .LBB4_88
.LBB4_84:                               ;   Parent Loop BB4_49 Depth=1
                                        ; =>  This Inner Loop Header: Depth=2
	s_add_i32 s58, s58, 1
	s_cmpk_lg_i32 s58, 0x2710
	s_cselect_b64 s[54:55], -1, 0
	s_and_b64 vcc, exec, s[54:55]
                                        ; implicit-def: $sgpr56_sgpr57
	s_cbranch_vccnz .LBB4_86
; %bb.85:                               ;   in Loop: Header=BB4_84 Depth=2
	s_trap 2
	ds_read_b64 v[0:1], v0
	s_andn2_b64 s[54:55], s[54:55], exec
	s_mov_b32 s58, 0
	s_mov_b64 s[56:57], -1
	s_waitcnt vmcnt(0) lgkmcnt(0)
	flat_load_dword v0, v[0:1] sc0 sc1
	s_waitcnt vmcnt(0) lgkmcnt(0)
	buffer_inv sc0 sc1
	v_cmp_eq_u32_e32 vcc, 0, v0
	s_and_b64 vcc, vcc, exec
	s_or_b64 s[54:55], s[54:55], vcc
.LBB4_86:                               ;   in Loop: Header=BB4_84 Depth=2
	s_andn2_b64 s[52:53], s[52:53], exec
	s_and_b64 s[56:57], s[56:57], exec
	s_mov_b64 vcc, -1
	s_or_b64 s[52:53], s[52:53], s[56:57]
	s_and_saveexec_b64 s[56:57], s[54:55]
	s_cbranch_execz .LBB4_83
; %bb.87:                               ;   in Loop: Header=BB4_84 Depth=2
	s_sleep 1
	s_trap 2
	ds_read_b64 v[0:1], v0
	s_andn2_b64 s[52:53], s[52:53], exec
	s_waitcnt lgkmcnt(0)
	v_cmp_ge_u64_e32 vcc, v[0:1], v[16:17]
	s_orn2_b64 vcc, vcc, exec
	s_branch .LBB4_83
.LBB4_88:                               ;   in Loop: Header=BB4_49 Depth=1
	s_or_b64 exec, exec, s[48:49]
	s_and_saveexec_b64 vcc, s[50:51]
	s_xor_b64 vcc, exec, vcc
	s_cbranch_execz .LBB4_90
; %bb.89:                               ;   in Loop: Header=BB4_49 Depth=1
	ds_write_b32 v0, v37
	s_trap 2
.LBB4_90:                               ;   in Loop: Header=BB4_49 Depth=1
	s_or_b64 exec, exec, s[46:47]
	;;#ASMSTART
	s_wakeup
	;;#ASMEND
.LBB4_91:                               ;   in Loop: Header=BB4_49 Depth=1
	s_or_b64 exec, exec, s[42:43]
.LBB4_92:                               ;   in Loop: Header=BB4_49 Depth=1
	s_andn2_saveexec_b64 vcc, s[40:41]
	s_cbranch_execz .LBB4_94
; %bb.93:                               ;   in Loop: Header=BB4_49 Depth=1
	s_waitcnt lgkmcnt(0)
	s_barrier
.LBB4_94:                               ;   in Loop: Header=BB4_49 Depth=1
	s_or_b64 exec, exec, vcc
.LBB4_95:                               ;   in Loop: Header=BB4_49 Depth=1
	s_or_b64 exec, exec, s[18:19]
	s_trap 2
	ds_read_b32 v0, v0
	v_and_b32_e32 v1, 0x4000, v62
	v_cmp_ne_u32_e32 vcc, 0, v1
	s_and_b64 vcc, s[30:31], vcc
	s_and_saveexec_b64 s[18:19], vcc
	s_cbranch_execz .LBB4_114
; %bb.96:                               ;   in Loop: Header=BB4_49 Depth=1
	s_and_saveexec_b64 vcc, s[26:27]
	s_xor_b64 s[40:41], exec, vcc
	s_cbranch_execz .LBB4_111
; %bb.97:                               ;   in Loop: Header=BB4_49 Depth=1
	s_and_saveexec_b64 s[42:43], s[10:11]
	s_cbranch_execz .LBB4_110
; %bb.98:                               ;   in Loop: Header=BB4_49 Depth=1
	s_mov_b64 s[48:49], exec
	v_mbcnt_lo_u32_b32 v1, s48, 0
	v_mbcnt_hi_u32_b32 v1, s49, v1
	v_cmp_eq_u32_e32 vcc, 0, v1
	s_waitcnt lgkmcnt(0)
	s_and_saveexec_b64 s[46:47], vcc
	s_cbranch_execz .LBB4_100
; %bb.99:                               ;   in Loop: Header=BB4_49 Depth=1
	s_bcnt1_i32_b64 vcc_lo, s[48:49]
	v_mov_b32_e32 v30, vcc_lo
	ds_add_u64 v0, v[30:31]
	s_trap 2
.LBB4_100:                              ;   in Loop: Header=BB4_49 Depth=1
	s_or_b64 exec, exec, s[46:47]
	s_trap 2
	ds_read_b64 v[2:3], v0
	v_lshl_add_u64 v[16:17], v[16:17], 0, v[20:21]
	s_waitcnt lgkmcnt(0)
	v_cmp_lt_u64_e32 vcc, v[2:3], v[16:17]
	s_and_saveexec_b64 s[46:47], vcc
	s_cbranch_execz .LBB4_109
; %bb.101:                              ;   in Loop: Header=BB4_49 Depth=1
	s_mov_b32 s58, 0
	s_mov_b64 s[48:49], 0
                                        ; implicit-def: $sgpr50_sgpr51
                                        ; implicit-def: $sgpr52_sgpr53
	s_branch .LBB4_103
.LBB4_102:                              ;   in Loop: Header=BB4_103 Depth=2
	s_or_b64 exec, exec, s[56:57]
	s_and_b64 vcc, exec, vcc
	s_or_b64 s[48:49], vcc, s[48:49]
	s_andn2_b64 vcc, s[50:51], exec
	s_and_b64 s[50:51], s[52:53], exec
	s_or_b64 s[50:51], vcc, s[50:51]
	s_andn2_b64 exec, exec, s[48:49]
	s_cbranch_execz .LBB4_107
.LBB4_103:                              ;   Parent Loop BB4_49 Depth=1
                                        ; =>  This Inner Loop Header: Depth=2
	s_add_i32 s58, s58, 1
	s_cmpk_lg_i32 s58, 0x2710
	s_cselect_b64 s[54:55], -1, 0
	s_and_b64 vcc, exec, s[54:55]
                                        ; implicit-def: $sgpr56_sgpr57
	s_cbranch_vccnz .LBB4_105
; %bb.104:                              ;   in Loop: Header=BB4_103 Depth=2
	s_trap 2
	ds_read_b64 v[2:3], v0
	s_andn2_b64 s[54:55], s[54:55], exec
	s_mov_b32 s58, 0
	s_mov_b64 s[56:57], -1
	s_waitcnt vmcnt(0) lgkmcnt(0)
	flat_load_dword v1, v[2:3] sc0 sc1
	s_waitcnt vmcnt(0) lgkmcnt(0)
	buffer_inv sc0 sc1
	v_cmp_eq_u32_e32 vcc, 0, v1
	s_and_b64 vcc, vcc, exec
	s_or_b64 s[54:55], s[54:55], vcc
.LBB4_105:                              ;   in Loop: Header=BB4_103 Depth=2
	s_andn2_b64 s[52:53], s[52:53], exec
	s_and_b64 s[56:57], s[56:57], exec
	s_mov_b64 vcc, -1
	s_or_b64 s[52:53], s[52:53], s[56:57]
	s_and_saveexec_b64 s[56:57], s[54:55]
	s_cbranch_execz .LBB4_102
; %bb.106:                              ;   in Loop: Header=BB4_103 Depth=2
	s_sleep 1
	s_trap 2
	ds_read_b64 v[2:3], v0
	s_andn2_b64 s[52:53], s[52:53], exec
	s_waitcnt lgkmcnt(0)
	v_cmp_ge_u64_e32 vcc, v[2:3], v[16:17]
	s_orn2_b64 vcc, vcc, exec
	s_branch .LBB4_102
.LBB4_107:                              ;   in Loop: Header=BB4_49 Depth=1
	s_or_b64 exec, exec, s[48:49]
	s_and_saveexec_b64 vcc, s[50:51]
	s_xor_b64 vcc, exec, vcc
	s_cbranch_execz .LBB4_109
; %bb.108:                              ;   in Loop: Header=BB4_49 Depth=1
	ds_write_b32 v0, v37
	s_trap 2
.LBB4_109:                              ;   in Loop: Header=BB4_49 Depth=1
	s_or_b64 exec, exec, s[46:47]
	;;#ASMSTART
	s_wakeup
	;;#ASMEND
.LBB4_110:                              ;   in Loop: Header=BB4_49 Depth=1
	s_or_b64 exec, exec, s[42:43]
.LBB4_111:                              ;   in Loop: Header=BB4_49 Depth=1
	s_andn2_saveexec_b64 vcc, s[40:41]
	s_cbranch_execz .LBB4_113
; %bb.112:                              ;   in Loop: Header=BB4_49 Depth=1
	s_waitcnt lgkmcnt(0)
	s_barrier
.LBB4_113:                              ;   in Loop: Header=BB4_49 Depth=1
	s_or_b64 exec, exec, vcc
.LBB4_114:                              ;   in Loop: Header=BB4_49 Depth=1
	s_or_b64 exec, exec, s[18:19]
	s_trap 2
	s_waitcnt lgkmcnt(0)
	ds_read_b64 v[2:3], v0
	s_waitcnt lgkmcnt(0)
	v_readfirstlane_b32 s18, v2
	v_readfirstlane_b32 s19, v3
	s_cmp_eq_u64 s[18:19], 0
	s_cselect_b64 s[18:19], -1, 0
	s_or_b64 vcc, s[18:19], s[18:19]
	s_mov_b64 s[18:19], 0
	s_and_b64 vcc, exec, vcc
	s_cbranch_vccnz .LBB4_143
; %bb.115:                              ;   in Loop: Header=BB4_49 Depth=1
	s_mov_b64 s[40:41], -1
	s_and_saveexec_b64 s[18:19], s[12:13]
	s_cbranch_execz .LBB4_117
; %bb.116:                              ;   in Loop: Header=BB4_49 Depth=1
	ds_read_b32 v1, v0 offset:720
	s_waitcnt lgkmcnt(0)
	v_and_b32_e32 v1, 15, v1
	v_cmp_eq_u32_e32 vcc, 0, v1
	s_orn2_b64 s[40:41], vcc, exec
.LBB4_117:                              ;   in Loop: Header=BB4_49 Depth=1
	s_or_b64 exec, exec, s[18:19]
	s_and_saveexec_b64 s[18:19], s[14:15]
	s_cbranch_execz .LBB4_119
; %bb.118:                              ;   in Loop: Header=BB4_49 Depth=1
	ds_read_b32 v1, v0 offset:784
	s_waitcnt lgkmcnt(0)
	v_and_b32_e32 v1, 15, v1
	v_cmp_eq_u32_e32 vcc, 0, v1
	s_and_b64 vcc, s[40:41], vcc
	s_andn2_b64 s[40:41], s[40:41], exec
	s_and_b64 vcc, vcc, exec
	s_or_b64 s[40:41], s[40:41], vcc
.LBB4_119:                              ;   in Loop: Header=BB4_49 Depth=1
	s_or_b64 exec, exec, s[18:19]
	v_cmp_eq_u32_e32 vcc, 0, v0
	v_accvgpr_write_b32 a41, v7
	v_accvgpr_write_b32 a40, v6
	v_cndmask_b32_e32 v30, 0, v56, vcc
	s_xor_b64 vcc, s[40:41], -1
	v_cndmask_b32_e64 v0, 0, 1, vcc
	v_mov_b32_e32 v39, 0
	s_mov_b64 s[18:19], -1
	;;#ASMSTART
	;;#ASMEND
	v_mov_b32_e32 v4, v30
	v_cmp_ne_u32_e32 vcc, 0, v0
	v_mov_b32_e32 v5, v61
	v_mov_b32_e32 v2, v14
	s_cbranch_vccz .LBB4_121
; %bb.120:                              ;   in Loop: Header=BB4_49 Depth=1
	s_and_saveexec_b64 s[40:41], s[18:19]
	s_cbranch_execnz .LBB4_134
	s_branch .LBB4_142
.LBB4_121:                              ;   in Loop: Header=BB4_49 Depth=1
	v_lshrrev_b32_e32 v0, 11, v30
	v_sub_u32_e32 v38, v0, v14
	v_cmp_lt_i32_e32 vcc, 0, v38
	s_and_saveexec_b64 s[18:19], vcc
	s_cbranch_execz .LBB4_125
; %bb.122:                              ;   in Loop: Header=BB4_49 Depth=1
	s_trap 2
	ds_read_b128 v[0:3], v0
	v_accvgpr_read_b32 v6, a34
	v_accvgpr_write_b32 a36, v42
	v_accvgpr_write_b32 a27, v17
	;; [unrolled: 1-line block ×3, first 2 shown]
	s_waitcnt lgkmcnt(0)
	ds_read_b64 v[4:5], v0
	v_accvgpr_write_b32 a14, v32
	v_accvgpr_read_b32 v7, a35
	v_accvgpr_write_b32 a48, v54
	v_accvgpr_write_b32 a51, v21
	;; [unrolled: 1-line block ×14, first 2 shown]
	v_lshl_add_u64 v[42:43], v[0:1], 0, v[6:7]
	v_lshl_add_u64 v[52:53], v[2:3], 0, v[6:7]
	s_waitcnt lgkmcnt(0)
	v_lshl_add_u64 v[50:51], v[4:5], 0, v[6:7]
	s_mov_b64 s[40:41], 0
	v_accvgpr_write_b32 a50, v20
	v_mov_b32_e32 v39, 0xc7600000
.LBB4_123:                              ;   Parent Loop BB4_49 Depth=1
                                        ; =>  This Inner Loop Header: Depth=2
	s_trap 2
	global_load_dwordx4 v[10:13], v[42:43], off nt
	global_load_dwordx4 v[14:17], v[42:43], off offset:1024 nt
	global_load_dwordx4 v[22:25], v[52:53], off nt
	global_load_dwordx4 v[18:21], v[52:53], off offset:1024 nt
	s_waitcnt vmcnt(0)
	v_and_b32_e32 v0, 0xff, v10
	v_and_b32_e32 v36, 0xff, v11
	v_bfe_u32 v37, v11, 8, 8
	v_lshrrev_b32_e32 v58, 24, v11
	v_bfe_u32 v59, v11, 16, 8
	v_lshrrev_b32_e32 v11, 16, v21
	v_accvgpr_write_b32 a52, v11
	ds_read_b32 v11, v0
	v_bfe_u32 v4, v10, 8, 8
	v_cvt_f32_bf8_sdwa v0, v0 src0_sel:BYTE_0
	v_cvt_f32_bf8_sdwa v4, v4 src0_sel:BYTE_0
	v_lshrrev_b32_e32 v2, 24, v17
	s_waitcnt lgkmcnt(0)
	v_and_b32_e32 v11, 0xff, v11
	v_cvt_f32_bf8_sdwa v48, v11 src0_sel:BYTE_0
	v_bfe_u32 v1, v10, 16, 8
	v_accvgpr_write_b32 a45, v2
	v_bfe_u32 v2, v17, 16, 8
	v_mul_f32_e32 v0, v48, v0
	v_med3_f32 v11, v0, s65, v39
	v_cmp_nlg_f32_e64 vcc, |v0|, s64
	v_mul_f32_e32 v4, v48, v4
	v_accvgpr_write_b32 a47, v2
	v_cndmask_b32_e32 v0, v11, v0, vcc
	v_med3_f32 v11, v4, s65, v39
	v_cmp_nlg_f32_e64 vcc, |v4|, s64
	v_lshrrev_b32_e32 v60, 16, v18
	v_and_b32_e32 v55, 0xffff, v18
	v_cndmask_b32_e32 v4, v11, v4, vcc
	v_mov_b32_e32 v11, 0
	v_cvt_pk_bf8_f32 v11, v4, v4
	v_mov_b32_e32 v4, 0
	v_cvt_pk_bf8_f32 v4, v0, v0
	v_lshrrev_b32_e32 v35, 16, v19
	v_lshlrev_b32_e32 v0, 8, v11
	v_and_b32_e32 v2, 0xffff, v19
	v_perm_b32 v0, v0, v4, s66
	v_cvt_pk_f32_bf8_e32 v[18:19], v0
	v_cvt_f32_bf8_sdwa v0, v1 src0_sel:BYTE_0
	v_lshrrev_b32_e32 v62, 24, v10
	v_and_b32_e32 v46, 0xff, v12
	v_bfe_u32 v47, v12, 8, 8
	v_mul_f32_e32 v0, v48, v0
	v_med3_f32 v1, v0, s65, v39
	v_cmp_nlg_f32_e64 vcc, |v0|, s64
	v_lshrrev_b32_e32 v61, 24, v12
	v_bfe_u32 v54, v12, 16, 8
	v_cndmask_b32_e32 v0, v1, v0, vcc
	v_cvt_f32_bf8_sdwa v1, v62 src0_sel:BYTE_0
	v_lshrrev_b32_e32 v12, 16, v22
	v_and_b32_e32 v10, 0xffff, v22
	v_and_b32_e32 v44, 0xff, v13
	v_mul_f32_e32 v1, v48, v1
	v_med3_f32 v4, v1, s65, v39
	v_cmp_nlg_f32_e64 vcc, |v1|, s64
	v_bfe_u32 v45, v13, 8, 8
	v_lshrrev_b32_e32 v31, 24, v13
	v_cndmask_b32_e32 v1, v4, v1, vcc
	v_mov_b32_e32 v4, 0
	v_cvt_pk_bf8_f32 v4, v1, v1
	v_mov_b32_e32 v1, 0
	v_cvt_pk_bf8_f32 v1, v0, v0
	v_bfe_u32 v57, v13, 16, 8
	v_lshlrev_b32_e32 v0, 8, v4
	v_cvt_pk_f32_bf8_e32 v[10:11], v10
	v_perm_b32 v4, v0, v1, s66
	v_cvt_pk_f32_bf8_e32 v[0:1], v12
	v_cvt_pk_f32_bf8_e32 v[12:13], v4
	;;#ASMSTART
	v_pk_add_f32 v[10:11], v[18:19], v[10:11]
	;;#ASMEND
	;;#ASMSTART
	v_pk_add_f32 v[12:13], v[12:13], v[0:1]
	;;#ASMEND
	v_cvt_f32_bf8_sdwa v0, v36 src0_sel:BYTE_0
	v_cvt_f32_bf8_sdwa v1, v37 src0_sel:BYTE_0
	v_and_b32_e32 v26, 0xff, v15
	v_bfe_u32 v27, v15, 8, 8
	v_mul_f32_e32 v0, v48, v0
	v_mul_f32_e32 v1, v48, v1
	v_med3_f32 v4, v0, s65, v39
	v_cmp_nlg_f32_e64 vcc, |v0|, s64
	v_lshrrev_b32_e32 v33, 24, v15
	v_bfe_u32 v34, v15, 16, 8
	v_cndmask_b32_e32 v0, v4, v0, vcc
	v_med3_f32 v4, v1, s65, v39
	v_cmp_nlg_f32_e64 vcc, |v1|, s64
	v_mov_b32_e32 v15, 0
	v_cvt_pk_bf8_f32 v15, v0, v0
	v_cndmask_b32_e32 v1, v4, v1, vcc
	v_mov_b32_e32 v4, 0
	v_cvt_pk_bf8_f32 v4, v1, v1
	v_and_b32_e32 v3, 0xff, v14
	v_bfe_u32 v30, v14, 8, 8
	v_lshrrev_b32_e32 v28, 24, v14
	v_lshlrev_b32_e32 v4, 8, v4
	v_bfe_u32 v29, v14, 16, 8
	v_and_b32_e32 v14, 0xffff, v23
	v_perm_b32 v4, v4, v15, s66
	v_cvt_pk_f32_bf8_e32 v[0:1], v14
	v_cvt_pk_f32_bf8_e32 v[14:15], v4
	;;#ASMSTART
	v_pk_add_f32 v[14:15], v[14:15], v[0:1]
	;;#ASMEND
	v_cvt_f32_bf8_sdwa v0, v59 src0_sel:BYTE_0
	v_cvt_f32_bf8_sdwa v1, v58 src0_sel:BYTE_0
	v_and_b32_e32 v7, 0xff, v17
	v_bfe_u32 v8, v17, 8, 8
	v_mul_f32_e32 v0, v48, v0
	v_mul_f32_e32 v1, v48, v1
	v_med3_f32 v17, v0, s65, v39
	v_cmp_nlg_f32_e64 vcc, |v0|, s64
	v_mov_b32_e32 v4, 0
	v_and_b32_e32 v9, 0xff, v16
	v_cndmask_b32_e32 v0, v17, v0, vcc
	v_med3_f32 v17, v1, s65, v39
	v_cmp_nlg_f32_e64 vcc, |v1|, s64
	v_cvt_pk_bf8_f32 v4, v0, v0
	v_bfe_u32 v32, v16, 8, 8
	v_cndmask_b32_e32 v1, v17, v1, vcc
	v_mov_b32_e32 v17, 0
	v_cvt_pk_bf8_f32 v17, v1, v1
	v_lshrrev_b32_e32 v6, 24, v16
	v_bfe_u32 v5, v16, 16, 8
	v_lshrrev_b32_e32 v16, 16, v23
	v_cvt_pk_f32_bf8_e32 v[0:1], v16
	v_lshlrev_b32_e32 v16, 8, v17
	v_perm_b32 v4, v16, v4, s66
	v_cvt_pk_f32_bf8_e32 v[16:17], v4
	;;#ASMSTART
	v_pk_add_f32 v[16:17], v[16:17], v[0:1]
	;;#ASMEND
	v_cvt_f32_bf8_sdwa v0, v46 src0_sel:BYTE_0
	v_cvt_f32_bf8_sdwa v1, v47 src0_sel:BYTE_0
	v_mov_b32_e32 v4, 0
	v_mov_b32_e32 v18, 0
	v_mul_f32_e32 v0, v48, v0
	v_mul_f32_e32 v1, v48, v1
	v_med3_f32 v19, v0, s65, v39
	v_cmp_nlg_f32_e64 vcc, |v0|, s64
	v_and_b32_e32 v41, 0xffff, v24
	v_lshrrev_b32_e32 v23, 16, v24
	v_cndmask_b32_e32 v0, v19, v0, vcc
	v_med3_f32 v19, v1, s65, v39
	v_cmp_nlg_f32_e64 vcc, |v1|, s64
	v_cvt_pk_bf8_f32 v18, v0, v0
	v_lshrrev_b32_e32 v24, 16, v25
	v_cndmask_b32_e32 v1, v19, v1, vcc
	v_cvt_pk_bf8_f32 v4, v1, v1
	v_cvt_pk_f32_bf8_e32 v[0:1], v41
	v_and_b32_e32 v22, 0xffff, v25
	v_and_b32_e32 v49, 0xffff, v21
	v_lshlrev_b32_e32 v4, 8, v4
	v_perm_b32 v4, v4, v18, s66
	v_cvt_pk_f32_bf8_e32 v[18:19], v4
	;;#ASMSTART
	v_pk_add_f32 v[18:19], v[18:19], v[0:1]
	;;#ASMEND
	v_cvt_f32_bf8_sdwa v0, v54 src0_sel:BYTE_0
	v_cvt_f32_bf8_sdwa v1, v61 src0_sel:BYTE_0
	v_mov_b32_e32 v21, 0
	v_lshrrev_b32_e32 v40, 16, v20
	v_mul_f32_e32 v0, v48, v0
	v_mul_f32_e32 v1, v48, v1
	v_med3_f32 v25, v0, s65, v39
	v_cmp_nlg_f32_e64 vcc, |v0|, s64
	v_and_b32_e32 v56, 0xffff, v20
	v_mov_b32_e32 v20, 0
	v_cndmask_b32_e32 v0, v25, v0, vcc
	v_med3_f32 v25, v1, s65, v39
	v_cmp_nlg_f32_e64 vcc, |v1|, s64
	v_cvt_pk_bf8_f32 v20, v0, v0
	v_mov_b32_e32 v4, 0
	v_cndmask_b32_e32 v1, v25, v1, vcc
	v_cvt_pk_bf8_f32 v21, v1, v1
	v_cvt_pk_f32_bf8_e32 v[0:1], v23
	v_mov_b32_e32 v25, 0
	v_mov_b32_e32 v37, 0
	v_lshlrev_b32_e32 v21, 8, v21
	v_perm_b32 v20, v21, v20, s66
	v_cvt_pk_f32_bf8_e32 v[20:21], v20
	;;#ASMSTART
	v_pk_add_f32 v[20:21], v[20:21], v[0:1]
	;;#ASMEND
	v_cvt_f32_bf8_sdwa v0, v44 src0_sel:BYTE_0
	v_cvt_f32_bf8_sdwa v1, v45 src0_sel:BYTE_0
	v_mov_b32_e32 v36, 0
	v_mov_b32_e32 v41, 0
	v_mul_f32_e32 v0, v48, v0
	v_mul_f32_e32 v1, v48, v1
	v_med3_f32 v23, v0, s65, v39
	v_cmp_nlg_f32_e64 vcc, |v0|, s64
	v_mov_b32_e32 v54, 0
	v_mov_b32_e32 v44, 0
	v_cndmask_b32_e32 v0, v23, v0, vcc
	v_med3_f32 v23, v1, s65, v39
	v_cmp_nlg_f32_e64 vcc, |v1|, s64
	v_cvt_pk_bf8_f32 v4, v0, v0
	v_mov_b32_e32 v45, 0
	v_cndmask_b32_e32 v1, v23, v1, vcc
	v_cvt_pk_bf8_f32 v25, v1, v1
	v_cvt_pk_f32_bf8_e32 v[0:1], v22
	v_mov_b32_e32 v46, 0
	v_mov_b32_e32 v47, 0
	v_lshlrev_b32_e32 v22, 8, v25
	v_perm_b32 v4, v22, v4, s66
	v_cvt_pk_f32_bf8_e32 v[22:23], v4
	;;#ASMSTART
	v_pk_add_f32 v[22:23], v[22:23], v[0:1]
	;;#ASMEND
	v_cvt_f32_bf8_sdwa v0, v57 src0_sel:BYTE_0
	v_cvt_f32_bf8_sdwa v1, v31 src0_sel:BYTE_0
	v_mov_b32_e32 v4, 0
	v_accvgpr_read_b32 v59, a49
	v_mul_f32_e32 v0, v48, v0
	v_mul_f32_e32 v1, v48, v1
	v_med3_f32 v25, v0, s65, v39
	v_cmp_nlg_f32_e64 vcc, |v0|, s64
	v_accvgpr_read_b32 v58, a48
	v_lshl_add_u64 v[42:43], v[42:43], 0, v[58:59]
	v_cndmask_b32_e32 v0, v25, v0, vcc
	v_med3_f32 v25, v1, s65, v39
	v_cmp_nlg_f32_e64 vcc, |v1|, s64
	v_cvt_pk_bf8_f32 v36, v0, v0
	v_lshl_add_u64 v[52:53], v[52:53], 0, v[58:59]
	v_cndmask_b32_e32 v1, v25, v1, vcc
	v_cvt_pk_bf8_f32 v37, v1, v1
	v_cvt_pk_f32_bf8_e32 v[0:1], v24
	v_lshlrev_b32_e32 v24, 8, v37
	v_perm_b32 v24, v24, v36, s66
	v_cvt_pk_f32_bf8_e32 v[24:25], v24
	;;#ASMSTART
	v_pk_add_f32 v[24:25], v[24:25], v[0:1]
	;;#ASMEND
	v_cvt_f32_bf8_sdwa v0, v3 src0_sel:BYTE_0
	v_cvt_f32_bf8_sdwa v1, v30 src0_sel:BYTE_0
	v_mov_b32_e32 v36, 0
	v_mov_b32_e32 v37, 0
	v_mul_f32_e32 v0, v48, v0
	v_mul_f32_e32 v1, v48, v1
	v_med3_f32 v3, v0, s65, v39
	v_cmp_nlg_f32_e64 vcc, |v0|, s64
	s_nop 1
	v_cndmask_b32_e32 v0, v3, v0, vcc
	v_med3_f32 v3, v1, s65, v39
	v_cmp_nlg_f32_e64 vcc, |v1|, s64
	v_cvt_pk_bf8_f32 v54, v0, v0
	s_nop 0
	v_cndmask_b32_e32 v1, v3, v1, vcc
	v_cvt_pk_bf8_f32 v41, v1, v1
	v_cvt_pk_f32_bf8_e32 v[0:1], v55
	v_mov_b32_e32 v55, 0
	v_lshlrev_b32_e32 v3, 8, v41
	v_perm_b32 v3, v3, v54, s66
	v_cvt_pk_f32_bf8_e32 v[30:31], v3
	;;#ASMSTART
	v_pk_add_f32 v[30:31], v[30:31], v[0:1]
	;;#ASMEND
	v_cvt_f32_bf8_sdwa v0, v29 src0_sel:BYTE_0
	v_cvt_f32_bf8_sdwa v1, v28 src0_sel:BYTE_0
	v_mov_b32_e32 v54, 0
	v_mov_b32_e32 v41, 0
	v_mul_f32_e32 v0, v48, v0
	v_mul_f32_e32 v1, v48, v1
	v_med3_f32 v3, v0, s65, v39
	v_cmp_nlg_f32_e64 vcc, |v0|, s64
	s_nop 1
	v_cndmask_b32_e32 v0, v3, v0, vcc
	v_med3_f32 v3, v1, s65, v39
	v_cmp_nlg_f32_e64 vcc, |v1|, s64
	v_cvt_pk_bf8_f32 v4, v0, v0
	s_nop 0
	v_cndmask_b32_e32 v1, v3, v1, vcc
	v_cvt_pk_bf8_f32 v44, v1, v1
	v_cvt_pk_f32_bf8_e32 v[0:1], v60
	v_accvgpr_read_b32 v61, a51
	v_accvgpr_read_b32 v60, a50
	v_lshlrev_b32_e32 v3, 8, v44
	v_perm_b32 v3, v3, v4, s66
	v_cvt_pk_f32_bf8_e32 v[28:29], v3
	;;#ASMSTART
	v_pk_add_f32 v[28:29], v[28:29], v[0:1]
	;;#ASMEND
	v_cvt_f32_bf8_sdwa v0, v26 src0_sel:BYTE_0
	v_cvt_f32_bf8_sdwa v1, v27 src0_sel:BYTE_0
	v_mov_b32_e32 v4, 0
	v_mov_b32_e32 v44, 0
	v_mul_f32_e32 v0, v48, v0
	v_mul_f32_e32 v1, v48, v1
	v_med3_f32 v3, v0, s65, v39
	v_cmp_nlg_f32_e64 vcc, |v0|, s64
	v_sub_u32_e32 v38, v38, v60
	s_nop 0
	v_cndmask_b32_e32 v0, v3, v0, vcc
	v_med3_f32 v3, v1, s65, v39
	v_cmp_nlg_f32_e64 vcc, |v1|, s64
	v_cvt_pk_bf8_f32 v45, v0, v0
	s_nop 0
	v_cndmask_b32_e32 v1, v3, v1, vcc
	v_cvt_pk_bf8_f32 v36, v1, v1
	v_cvt_pk_f32_bf8_e32 v[0:1], v2
	v_lshlrev_b32_e32 v2, 8, v36
	v_perm_b32 v2, v2, v45, s66
	v_cvt_pk_f32_bf8_e32 v[2:3], v2
	;;#ASMSTART
	v_pk_add_f32 v[26:27], v[2:3], v[0:1]
	;;#ASMEND
	v_cvt_f32_bf8_sdwa v0, v34 src0_sel:BYTE_0
	v_cvt_f32_bf8_sdwa v1, v33 src0_sel:BYTE_0
	v_mov_b32_e32 v45, 0
	v_mov_b32_e32 v36, 0
	v_mul_f32_e32 v0, v48, v0
	v_mul_f32_e32 v1, v48, v1
	v_med3_f32 v2, v0, s65, v39
	v_cmp_nlg_f32_e64 vcc, |v0|, s64
	v_mov_b32_e32 v3, 0
	v_cvt_pk_bf8_f32 v3, v10, v11
	v_cndmask_b32_e32 v0, v2, v0, vcc
	v_med3_f32 v2, v1, s65, v39
	v_cmp_nlg_f32_e64 vcc, |v1|, s64
	v_cvt_pk_bf8_f32 v37, v0, v0
	s_nop 0
	v_cndmask_b32_e32 v1, v2, v1, vcc
	v_cvt_pk_bf8_f32 v46, v1, v1
	v_cvt_pk_f32_bf8_e32 v[0:1], v35
	v_lshlrev_b32_e32 v2, 8, v46
	v_perm_b32 v2, v2, v37, s66
	v_cvt_pk_f32_bf8_e32 v[34:35], v2
	;;#ASMSTART
	v_pk_add_f32 v[34:35], v[34:35], v[0:1]
	;;#ASMEND
	v_cvt_f32_bf8_sdwa v0, v9 src0_sel:BYTE_0
	v_cvt_f32_bf8_sdwa v1, v32 src0_sel:BYTE_0
	v_mov_b32_e32 v37, 0
	v_mov_b32_e32 v2, 0
	v_mul_f32_e32 v0, v48, v0
	v_mul_f32_e32 v1, v48, v1
	v_med3_f32 v9, v0, s65, v39
	v_cmp_nlg_f32_e64 vcc, |v0|, s64
	v_mov_b32_e32 v46, 0
	v_cvt_pk_bf8_f32 v37, v14, v15
	v_cndmask_b32_e32 v0, v9, v0, vcc
	v_med3_f32 v9, v1, s65, v39
	v_cmp_nlg_f32_e64 vcc, |v1|, s64
	v_cvt_pk_bf8_f32 v54, v0, v0
	v_cvt_pk_bf8_f32 v2, v12, v13
	v_cndmask_b32_e32 v1, v9, v1, vcc
	v_cvt_pk_bf8_f32 v55, v1, v1
	v_cvt_pk_f32_bf8_e32 v[0:1], v56
	v_cvt_pk_bf8_f32 v46, v16, v17
	v_lshlrev_b32_e32 v9, 8, v55
	v_perm_b32 v9, v9, v54, s66
	v_cvt_pk_f32_bf8_e32 v[32:33], v9
	;;#ASMSTART
	v_pk_add_f32 v[56:57], v[32:33], v[0:1]
	;;#ASMEND
	v_cvt_f32_bf8_sdwa v0, v5 src0_sel:BYTE_0
	v_cvt_f32_bf8_sdwa v1, v6 src0_sel:BYTE_0
	v_mov_b32_e32 v32, 0
	v_mov_b32_e32 v54, 0
	v_mul_f32_e32 v0, v48, v0
	v_mul_f32_e32 v1, v48, v1
	v_med3_f32 v5, v0, s65, v39
	v_cmp_nlg_f32_e64 vcc, |v0|, s64
	v_mov_b32_e32 v33, 0
	v_mov_b32_e32 v55, 0
	v_cndmask_b32_e32 v0, v5, v0, vcc
	v_med3_f32 v5, v1, s65, v39
	v_cmp_nlg_f32_e64 vcc, |v1|, s64
	v_cvt_pk_bf8_f32 v41, v0, v0
	v_cvt_pk_bf8_f32 v32, v18, v19
	v_cndmask_b32_e32 v1, v5, v1, vcc
	v_cvt_pk_bf8_f32 v4, v1, v1
	v_cvt_pk_f32_bf8_e32 v[0:1], v40
	v_mov_b32_e32 v40, 0
	v_cvt_pk_bf8_f32 v54, v22, v23
	v_lshlrev_b32_e32 v4, 8, v4
	v_perm_b32 v4, v4, v41, s66
	v_cvt_pk_f32_bf8_e32 v[4:5], v4
	;;#ASMSTART
	v_pk_add_f32 v[0:1], v[4:5], v[0:1]
	;;#ASMEND
	v_cvt_f32_bf8_sdwa v4, v7 src0_sel:BYTE_0
	v_cvt_f32_bf8_sdwa v5, v8 src0_sel:BYTE_0
	v_mov_b32_e32 v41, 0
	v_cvt_pk_bf8_f32 v33, v20, v21
	v_mul_f32_e32 v4, v48, v4
	v_mul_f32_e32 v5, v48, v5
	v_med3_f32 v6, v4, s65, v39
	v_cmp_nlg_f32_e64 vcc, |v4|, s64
	v_cvt_pk_bf8_f32 v55, v24, v25
	v_cvt_pk_bf8_f32 v40, v30, v31
	v_cndmask_b32_e32 v4, v6, v4, vcc
	v_med3_f32 v6, v5, s65, v39
	v_cmp_nlg_f32_e64 vcc, |v5|, s64
	v_cvt_pk_bf8_f32 v44, v4, v4
	v_cvt_pk_bf8_f32 v41, v28, v29
	v_cndmask_b32_e32 v5, v6, v5, vcc
	v_cvt_pk_bf8_f32 v47, v5, v5
	v_cvt_pk_f32_bf8_e32 v[4:5], v49
	v_mov_b32_e32 v49, 0
	v_cvt_pk_bf8_f32 v49, v26, v27
	v_lshlrev_b32_e32 v6, 8, v47
	v_perm_b32 v6, v6, v44, s66
	v_cvt_pk_f32_bf8_e32 v[6:7], v6
	;;#ASMSTART
	v_pk_add_f32 v[4:5], v[6:7], v[4:5]
	;;#ASMEND
	v_accvgpr_read_b32 v6, a47
	v_cvt_f32_bf8_sdwa v6, v6 src0_sel:BYTE_0
	v_accvgpr_read_b32 v7, a45
	v_cvt_f32_bf8_sdwa v7, v7 src0_sel:BYTE_0
	v_mov_b32_e32 v44, 0
	v_mul_f32_e32 v6, v48, v6
	v_med3_f32 v8, v6, s65, v39
	v_mul_f32_e32 v7, v48, v7
	v_cmp_nlg_f32_e64 vcc, |v6|, s64
	v_mov_b32_e32 v48, 0
	v_mov_b32_e32 v47, 0
	v_cndmask_b32_e32 v6, v8, v6, vcc
	v_med3_f32 v8, v7, s65, v39
	v_cmp_nlg_f32_e64 vcc, |v7|, s64
	v_cvt_pk_bf8_f32 v36, v6, v6
	v_accvgpr_read_b32 v6, a52
	v_cndmask_b32_e32 v7, v8, v7, vcc
	v_cvt_pk_bf8_f32 v45, v7, v7
	v_cvt_pk_f32_bf8_e32 v[6:7], v6
	v_cvt_pk_bf8_f32 v48, v56, v57
	v_cvt_pk_bf8_f32 v44, v34, v35
	v_lshlrev_b32_e32 v8, 8, v45
	v_perm_b32 v8, v8, v36, s66
	v_cvt_pk_f32_bf8_e32 v[8:9], v8
	;;#ASMSTART
	v_pk_add_f32 v[6:7], v[8:9], v[6:7]
	;;#ASMEND
	v_mov_b32_e32 v8, 0
	v_mov_b32_e32 v9, 0
	v_cvt_pk_bf8_f32 v8, v4, v5
	v_cvt_pk_bf8_f32 v47, v0, v1
	;; [unrolled: 1-line block ×3, first 2 shown]
	v_and_b32_e32 v0, 0xffff, v3
	v_and_b32_e32 v1, 0xffff, v37
	;; [unrolled: 1-line block ×4, first 2 shown]
	v_cmp_gt_i32_e32 vcc, 1, v38
	v_and_b32_e32 v5, 0xffff, v40
	v_and_b32_e32 v6, 0xffff, v49
	;; [unrolled: 1-line block ×4, first 2 shown]
	v_lshl_or_b32 v0, v2, 16, v0
	v_lshl_or_b32 v1, v46, 16, v1
	;; [unrolled: 1-line block ×4, first 2 shown]
	s_or_b64 s[40:41], vcc, s[40:41]
	v_lshl_or_b32 v4, v41, 16, v5
	v_lshl_or_b32 v5, v44, 16, v6
	;; [unrolled: 1-line block ×4, first 2 shown]
	global_store_dwordx4 v[50:51], v[0:3], off nt
	global_store_dwordx4 v[50:51], v[4:7], off offset:1024 nt
	v_lshl_add_u64 v[50:51], v[50:51], 0, v[58:59]
	s_andn2_b64 exec, exec, s[40:41]
	s_cbranch_execnz .LBB4_123
; %bb.124:                              ;   in Loop: Header=BB4_49 Depth=1
	s_or_b64 exec, exec, s[40:41]
	v_accvgpr_read_b32 v25, a7
	v_accvgpr_read_b32 v59, a9
	;; [unrolled: 1-line block ×38, first 2 shown]
	v_mov_b32_e32 v37, 1
	v_mov_b32_e32 v47, 0xc7600000
	v_accvgpr_read_b32 v44, a44
	v_accvgpr_read_b32 v56, a46
	;; [unrolled: 1-line block ×3, first 2 shown]
.LBB4_125:                              ;   in Loop: Header=BB4_49 Depth=1
	s_or_b64 exec, exec, s[18:19]
	v_and_b32_e32 v3, 0x3ffff800, v30
	v_cmp_ne_u32_e32 vcc, v3, v30
	s_mov_b64 s[18:19], 0
	v_mov_b32_e32 v39, 0
                                        ; implicit-def: $vgpr4
                                        ; implicit-def: $vgpr5
                                        ; implicit-def: $vgpr2
	s_and_saveexec_b64 s[40:41], vcc
	s_cbranch_execz .LBB4_133
; %bb.126:                              ;   in Loop: Header=BB4_49 Depth=1
	v_lshlrev_b32_e32 v0, 6, v38
	v_accvgpr_read_b32 v2, a32
	v_sub_u32_e32 v0, v2, v0
	v_ashrrev_i32_e32 v2, 31, v0
	v_lshrrev_b32_e32 v2, 26, v2
	v_add_u32_e32 v2, v0, v2
	v_ashrrev_i32_e32 v4, 6, v2
	v_and_b32_e32 v2, 0xffffffc0, v2
	v_and_b32_e32 v1, 0x7ff, v30
	v_sub_u32_e32 v8, v0, v2
	v_and_b32_e32 v6, 0x400, v30
	v_lshlrev_b32_e32 v2, 4, v8
	v_sub_u32_e32 v6, v1, v6
	v_lshl_add_u32 v2, v4, 10, v2
	v_bfe_u32 v7, v30, 10, 1
	v_cmp_lt_i32_e32 vcc, 15, v6
	v_sub_u32_e32 v5, v1, v2
	s_nop 0
	v_addc_co_u32_e64 v1, s[18:19], 0, v7, vcc
	v_sub_u32_e32 v1, v1, v4
	v_cmp_lt_i32_e64 s[18:19], 15, v5
	s_and_saveexec_b64 s[42:43], s[18:19]
	s_cbranch_execz .LBB4_130
; %bb.127:                              ;   in Loop: Header=BB4_49 Depth=1
	v_accvgpr_write_b32 a47, v8
	s_trap 2
	ds_read_b128 v[8:11], v0
	ds_read_b64 v[12:13], v0
	v_add_u32_e32 v2, v2, v3
	v_accvgpr_write_b32 a45, v43
	v_accvgpr_write_b32 a36, v54
	;; [unrolled: 1-line block ×5, first 2 shown]
	v_ashrrev_i32_e32 v3, 31, v2
	v_accvgpr_write_b32 a51, v21
	v_accvgpr_mov_b32 a55, a41
	v_accvgpr_write_b32 a49, v6
	v_accvgpr_write_b32 a39, v30
	;; [unrolled: 1-line block ×13, first 2 shown]
	s_waitcnt lgkmcnt(0)
	v_lshl_add_u64 v[56:57], v[8:9], 0, v[2:3]
	v_accvgpr_write_b32 a50, v20
	v_lshl_add_u64 v[20:21], v[10:11], 0, v[2:3]
	v_accvgpr_write_b32 a52, v23
	v_lshl_add_u64 v[22:23], v[12:13], 0, v[2:3]
	s_mov_b64 s[46:47], 0
	v_accvgpr_mov_b32 a54, a40
	v_mov_b32_e32 v6, 0xc7600000
.LBB4_128:                              ;   Parent Loop BB4_49 Depth=1
                                        ; =>  This Inner Loop Header: Depth=2
	s_trap 2
	global_load_dwordx4 v[10:13], v[56:57], off nt
	global_load_dwordx4 v[14:17], v[20:21], off nt
	ds_read_b32 v39, v0
	v_mov_b32_e32 v29, 0
	v_mov_b32_e32 v30, 0
	;; [unrolled: 1-line block ×20, first 2 shown]
	v_accvgpr_read_b32 v18, a54
	v_accvgpr_read_b32 v19, a55
	v_lshl_add_u64 v[56:57], v[56:57], 0, v[18:19]
	v_lshl_add_u64 v[20:21], v[20:21], 0, v[18:19]
	s_waitcnt vmcnt(0)
	v_and_b32_e32 v48, 0xff, v10
	v_and_b32_e32 v44, 0xff, v13
	v_bfe_u32 v45, v13, 8, 8
	v_lshrrev_b32_e32 v46, 24, v13
	v_bfe_u32 v47, v13, 16, 8
	v_lshrrev_b32_e32 v37, 16, v17
	v_and_b32_e32 v13, 0xffff, v17
	s_waitcnt lgkmcnt(0)
	v_and_b32_e32 v17, 0xff, v39
	v_bfe_u32 v49, v10, 8, 8
	v_lshrrev_b32_e32 v50, 24, v10
	v_bfe_u32 v51, v10, 16, 8
	v_and_b32_e32 v52, 0xff, v11
	v_bfe_u32 v53, v11, 8, 8
	v_lshrrev_b32_e32 v54, 24, v11
	v_bfe_u32 v55, v11, 16, 8
	;; [unrolled: 4-line block ×3, first 2 shown]
	v_cvt_f32_bf8_sdwa v17, v17 src0_sel:BYTE_0
	v_cvt_f32_bf8_sdwa v39, v48 src0_sel:BYTE_0
	;; [unrolled: 1-line block ×17, first 2 shown]
	v_mul_f32_e32 v39, v17, v39
	v_mul_f32_e32 v48, v17, v48
	;; [unrolled: 1-line block ×16, first 2 shown]
	v_med3_f32 v46, v39, s65, v6
	v_cmp_nlg_f32_e64 s[18:19], |v39|, s64
	v_lshrrev_b32_e32 v0, 16, v14
	v_accvgpr_write_b32 a53, v0
	v_cndmask_b32_e64 v39, v46, v39, s[18:19]
	v_med3_f32 v46, v48, s65, v6
	v_cmp_nlg_f32_e64 s[18:19], |v48|, s64
	v_cvt_pk_bf8_f32 v7, v39, v39
	v_lshrrev_b32_e32 v0, 16, v15
	v_cndmask_b32_e64 v48, v46, v48, s[18:19]
	v_med3_f32 v46, v49, s65, v6
	v_cmp_nlg_f32_e64 s[18:19], |v49|, s64
	v_cvt_pk_bf8_f32 v29, v48, v48
	v_and_b32_e32 v14, 0xffff, v14
	v_cndmask_b32_e64 v49, v46, v49, s[18:19]
	v_med3_f32 v46, v50, s65, v6
	v_cmp_nlg_f32_e64 s[18:19], |v50|, s64
	v_cvt_pk_bf8_f32 v9, v49, v49
	v_accvgpr_write_b32 a56, v0
	v_cndmask_b32_e64 v50, v46, v50, s[18:19]
	v_med3_f32 v46, v51, s65, v6
	v_cmp_nlg_f32_e64 s[18:19], |v51|, s64
	v_cvt_pk_bf8_f32 v30, v50, v50
	v_and_b32_e32 v15, 0xffff, v15
	v_cndmask_b32_e64 v46, v46, v51, s[18:19]
	v_med3_f32 v51, v52, s65, v6
	v_cmp_nlg_f32_e64 s[18:19], |v52|, s64
	v_cvt_pk_bf8_f32 v8, v46, v46
	v_lshrrev_b32_e32 v36, 16, v16
	v_cndmask_b32_e64 v52, v51, v52, s[18:19]
	v_med3_f32 v51, v53, s65, v6
	v_cmp_nlg_f32_e64 s[18:19], |v53|, s64
	v_cvt_pk_bf8_f32 v31, v52, v52
	v_and_b32_e32 v16, 0xffff, v16
	v_cndmask_b32_e64 v47, v51, v53, s[18:19]
	v_med3_f32 v51, v54, s65, v6
	v_cmp_nlg_f32_e64 s[18:19], |v54|, s64
	v_cvt_pk_bf8_f32 v25, v47, v47
	v_cvt_pk_f32_bf8_e32 v[48:49], v14
	v_cndmask_b32_e64 v54, v51, v54, s[18:19]
	v_med3_f32 v51, v55, s65, v6
	v_cmp_nlg_f32_e64 s[18:19], |v55|, s64
	v_cvt_pk_bf8_f32 v32, v54, v54
	v_accvgpr_read_b32 v14, a53
	v_cndmask_b32_e64 v4, v51, v55, s[18:19]
	v_med3_f32 v51, v40, s65, v6
	v_cmp_nlg_f32_e64 s[18:19], |v40|, s64
	v_cvt_pk_bf8_f32 v24, v4, v4
	v_lshlrev_b32_e32 v4, 8, v29
	v_cndmask_b32_e64 v58, v51, v40, s[18:19]
	v_med3_f32 v51, v41, s65, v6
	v_cmp_nlg_f32_e64 s[18:19], |v41|, s64
	v_cvt_pk_bf8_f32 v33, v58, v58
	v_lshlrev_b32_e32 v29, 8, v31
	v_cndmask_b32_e64 v59, v51, v41, s[18:19]
	v_med3_f32 v51, v42, s65, v6
	v_cmp_nlg_f32_e64 s[18:19], |v42|, s64
	v_accvgpr_read_b32 v40, a50
	v_cvt_pk_bf8_f32 v27, v59, v59
	v_cndmask_b32_e64 v42, v51, v42, s[18:19]
	v_med3_f32 v51, v43, s65, v6
	v_cmp_nlg_f32_e64 s[18:19], |v43|, s64
	v_cvt_pk_bf8_f32 v34, v42, v42
	v_accvgpr_read_b32 v41, a51
	v_cndmask_b32_e64 v43, v51, v43, s[18:19]
	v_med3_f32 v51, v44, s65, v6
	v_cmp_nlg_f32_e64 s[18:19], |v44|, s64
	v_cvt_pk_bf8_f32 v26, v43, v43
	v_sub_u32_e32 v1, v1, v40
	v_cndmask_b32_e64 v44, v51, v44, s[18:19]
	v_med3_f32 v51, v45, s65, v6
	v_cmp_nlg_f32_e64 s[18:19], |v45|, s64
	v_cvt_pk_bf8_f32 v35, v44, v44
	v_cvt_pk_f32_bf8_e32 v[40:41], v13
	v_cndmask_b32_e64 v45, v51, v45, s[18:19]
	v_med3_f32 v51, v17, s65, v6
	v_cmp_nlg_f32_e64 s[18:19], |v17|, s64
	v_cvt_pk_bf8_f32 v28, v45, v45
	v_lshlrev_b32_e32 v13, 8, v30
	v_cndmask_b32_e64 v60, v51, v17, s[18:19]
	v_cvt_pk_bf8_f32 v38, v60, v60
	v_accvgpr_read_b32 v17, a52
	v_lshlrev_b32_e32 v30, 8, v32
	v_lshlrev_b32_e32 v31, 8, v33
	v_sub_u32_e32 v5, v5, v17
	v_accvgpr_read_b32 v17, a56
	v_lshlrev_b32_e32 v32, 8, v34
	v_lshlrev_b32_e32 v33, 8, v35
	;; [unrolled: 1-line block ×3, first 2 shown]
	v_perm_b32 v13, v13, v9, s66
	v_perm_b32 v4, v4, v7, s66
	;; [unrolled: 1-line block ×5, first 2 shown]
	v_mov_b32_e32 v11, 0
	v_mov_b32_e32 v12, 0
	v_cvt_pk_f32_bf8_e32 v[50:51], v14
	v_cvt_pk_f32_bf8_e32 v[14:15], v15
	v_cvt_pk_f32_bf8_e32 v[52:53], v17
	v_cvt_pk_f32_bf8_e32 v[16:17], v16
	v_perm_b32 v32, v32, v27, s66
	v_perm_b32 v38, v34, v28, s66
	;; [unrolled: 1-line block ×3, first 2 shown]
	v_cvt_pk_f32_bf8_e32 v[8:9], v4
	v_cvt_pk_f32_bf8_e32 v[24:25], v13
	;; [unrolled: 1-line block ×5, first 2 shown]
	v_mov_b32_e32 v10, 0
	v_mov_b32_e32 v0, 0
	v_cvt_pk_f32_bf8_e32 v[54:55], v36
	v_cvt_pk_f32_bf8_e32 v[32:33], v32
	;; [unrolled: 1-line block ×3, first 2 shown]
	;;#ASMSTART
	v_pk_add_f32 v[8:9], v[8:9], v[48:49]
	;;#ASMEND
	;;#ASMSTART
	v_pk_add_f32 v[24:25], v[24:25], v[50:51]
	;;#ASMEND
	;; [unrolled: 3-line block ×7, first 2 shown]
	v_cvt_pk_f32_bf8_e32 v[36:37], v37
	v_cvt_pk_bf8_f32 v2, v8, v9
	v_cvt_pk_bf8_f32 v11, v14, v15
	;; [unrolled: 1-line block ×4, first 2 shown]
	v_cvt_pk_f32_bf8_e32 v[38:39], v38
	;;#ASMSTART
	v_pk_add_f32 v[32:33], v[38:39], v[36:37]
	;;#ASMEND
	v_cvt_pk_bf8_f32 v3, v24, v25
	v_cvt_pk_bf8_f32 v10, v26, v27
	;; [unrolled: 1-line block ×4, first 2 shown]
	v_and_b32_e32 v2, 0xffff, v2
	v_and_b32_e32 v4, 0xffff, v11
	;; [unrolled: 1-line block ×4, first 2 shown]
	v_cmp_gt_i32_e64 s[18:19], 16, v5
	v_lshl_or_b32 v8, v3, 16, v2
	v_lshl_or_b32 v9, v10, 16, v4
	;; [unrolled: 1-line block ×4, first 2 shown]
	s_or_b64 s[46:47], s[18:19], s[46:47]
	global_store_dwordx4 v[22:23], v[8:11], off nt
	v_lshl_add_u64 v[22:23], v[22:23], 0, v[18:19]
	s_andn2_b64 exec, exec, s[46:47]
	s_cbranch_execnz .LBB4_128
; %bb.129:                              ;   in Loop: Header=BB4_49 Depth=1
	s_or_b64 exec, exec, s[46:47]
	v_accvgpr_read_b32 v25, a7
	v_accvgpr_read_b32 v59, a9
	;; [unrolled: 1-line block ×38, first 2 shown]
	v_mov_b32_e32 v37, 1
	v_mov_b32_e32 v47, 0xc7600000
	v_accvgpr_read_b32 v44, a46
	v_accvgpr_read_b32 v56, a48
	;; [unrolled: 1-line block ×5, first 2 shown]
.LBB4_130:                              ;   in Loop: Header=BB4_49 Depth=1
	s_or_b64 exec, exec, s[42:43]
	v_and_b32_e32 v3, 15, v30
	v_cndmask_b32_e32 v4, v6, v3, vcc
	v_cmp_ne_u32_e64 s[18:19], 0, v4
	s_mov_b64 s[42:43], 0
	v_mov_b32_e32 v39, 0
                                        ; implicit-def: $vgpr5
                                        ; implicit-def: $vgpr2
	s_and_saveexec_b64 s[46:47], s[18:19]
	s_cbranch_execz .LBB4_132
; %bb.131:                              ;   in Loop: Header=BB4_49 Depth=1
	v_sub_u32_e32 v2, v6, v3
	v_and_b32_e32 v0, 0x3ffffc00, v30
	v_cndmask_b32_e32 v2, 0, v2, vcc
	v_cmp_lt_i32_e32 vcc, 0, v1
	v_add_u32_e32 v39, v2, v0
	s_mov_b64 s[42:43], exec
	v_cndmask_b32_e32 v0, 0, v20, vcc
	v_sub_u32_e32 v0, v0, v1
	v_lshl_add_u32 v5, v0, 6, v8
	v_ashrrev_i32_e32 v0, 31, v5
	v_lshrrev_b32_e32 v0, 26, v0
	v_add_u32_e32 v0, v5, v0
	v_ashrrev_i32_e32 v2, 6, v0
.LBB4_132:                              ;   in Loop: Header=BB4_49 Depth=1
	s_or_b64 exec, exec, s[46:47]
	s_and_b64 s[18:19], s[42:43], exec
.LBB4_133:                              ;   in Loop: Header=BB4_49 Depth=1
	s_or_b64 exec, exec, s[40:41]
	s_and_saveexec_b64 s[40:41], s[18:19]
	s_cbranch_execz .LBB4_142
.LBB4_134:                              ;   in Loop: Header=BB4_49 Depth=1
	v_ashrrev_i32_e32 v0, 31, v4
	v_lshrrev_b32_e32 v0, 22, v0
	v_add_u32_e32 v0, v4, v0
	v_ashrrev_i32_e32 v3, 10, v0
	v_sub_u32_e32 v60, v3, v2
	v_ashrrev_i32_e32 v0, 31, v5
	v_cmp_lt_i32_e32 vcc, 0, v60
	v_lshrrev_b32_e32 v1, 26, v0
	s_and_saveexec_b64 s[42:43], vcc
	s_cbranch_execz .LBB4_138
; %bb.135:                              ;   in Loop: Header=BB4_49 Depth=1
	v_add_u32_e32 v0, v5, v1
	v_and_b32_e32 v0, 0xffffffc0, v0
	v_accvgpr_write_b32 a53, v3
	s_trap 2
	v_accvgpr_write_b32 a52, v1
	v_sub_u32_e32 v3, v5, v0
	ds_read_b128 v[10:13], v0
	ds_read_b64 v[0:1], v0
	v_lshlrev_b32_e32 v2, 10, v2
	v_add3_u32 v2, v39, v3, v2
	v_accvgpr_write_b32 a45, v43
	v_accvgpr_write_b32 a36, v54
	;; [unrolled: 1-line block ×5, first 2 shown]
	v_ashrrev_i32_e32 v3, 31, v2
	s_waitcnt lgkmcnt(0)
	v_lshl_add_u64 v[0:1], v[0:1], 0, s[34:35]
	v_accvgpr_write_b32 a55, v21
	v_accvgpr_mov_b32 a57, a41
	v_accvgpr_write_b32 a49, v4
	v_accvgpr_write_b32 a39, v30
	;; [unrolled: 1-line block ×15, first 2 shown]
	v_lshl_add_u64 v[48:49], v[10:11], 0, v[2:3]
	v_lshl_add_u64 v[12:13], v[12:13], 0, v[2:3]
	;; [unrolled: 1-line block ×3, first 2 shown]
	s_mov_b64 s[46:47], 0
	v_accvgpr_write_b32 a54, v20
	v_accvgpr_mov_b32 a56, a40
.LBB4_136:                              ;   Parent Loop BB4_49 Depth=1
                                        ; =>  This Inner Loop Header: Depth=2
	s_trap 2
	flat_load_ubyte v7, v[48:49] nt
	flat_load_ubyte v6, v[12:13] nt
	flat_load_ubyte v18, v[48:49] offset:64 nt
	flat_load_ubyte v19, v[12:13] offset:64 nt
	;; [unrolled: 1-line block ×3, first 2 shown]
	ds_read_b32 v3, v0
	flat_load_ubyte v24, v[12:13] offset:128 nt
	flat_load_ubyte v25, v[48:49] offset:192 nt
	;; [unrolled: 1-line block ×12, first 2 shown]
	v_accvgpr_write_b32 a51, v60
	flat_load_ubyte v60, v[48:49] offset:896 nt
	flat_load_ubyte v38, v[48:49] offset:960 nt
	;; [unrolled: 1-line block ×15, first 2 shown]
	s_waitcnt lgkmcnt(0)
	v_and_b32_e32 v3, 0xff, v3
	v_cvt_f32_bf8_sdwa v3, v3 src0_sel:BYTE_0
	v_mov_b32_e32 v16, 0
	v_mov_b32_e32 v20, 0
	;; [unrolled: 1-line block ×18, first 2 shown]
	s_waitcnt vmcnt(0)
	v_cvt_f32_bf8_sdwa v7, v7 src0_sel:BYTE_0
	s_nop 0
	v_mul_f32_e32 v7, v3, v7
	v_med3_f32 v8, v7, s65, v47
	v_cmp_nlg_f32_e64 vcc, |v7|, s64
	s_nop 1
	v_cndmask_b32_e32 v7, v8, v7, vcc
	v_cvt_pk_bf8_f32 v16, v7, v7
	v_cvt_pk_f32_bf8_e32 v[8:9], v6
	v_and_b32_e32 v6, 0xff, v16
	v_cvt_pk_f32_bf8_e32 v[16:17], v6
	v_cvt_f32_bf8_sdwa v6, v18 src0_sel:BYTE_0
	;;#ASMSTART
	v_pk_add_f32 v[16:17], v[16:17], v[8:9]
	;;#ASMEND
	v_cvt_pk_f32_bf8_e32 v[8:9], v19
	v_mov_b32_e32 v17, 0
	v_mul_f32_e32 v6, v3, v6
	v_med3_f32 v7, v6, s65, v47
	v_cmp_nlg_f32_e64 vcc, |v6|, s64
	s_nop 1
	v_cndmask_b32_e32 v6, v7, v6, vcc
	v_cvt_pk_bf8_f32 v20, v6, v6
	v_and_b32_e32 v6, 0xff, v20
	v_cvt_pk_f32_bf8_e32 v[18:19], v6
	v_cvt_f32_bf8_sdwa v6, v21 src0_sel:BYTE_0
	;;#ASMSTART
	v_pk_add_f32 v[18:19], v[18:19], v[8:9]
	;;#ASMEND
	v_cvt_pk_f32_bf8_e32 v[8:9], v24
	v_mul_f32_e32 v6, v3, v6
	v_med3_f32 v7, v6, s65, v47
	v_cmp_nlg_f32_e64 vcc, |v6|, s64
	s_nop 1
	v_cndmask_b32_e32 v6, v7, v6, vcc
	v_cvt_pk_bf8_f32 v22, v6, v6
	v_mov_b32_e32 v7, 0
	v_cvt_pk_bf8_f32 v7, v16, v16
	v_and_b32_e32 v6, 0xff, v22
	v_cvt_pk_f32_bf8_e32 v[20:21], v6
	v_cvt_f32_bf8_sdwa v6, v25 src0_sel:BYTE_0
	;;#ASMSTART
	v_pk_add_f32 v[20:21], v[20:21], v[8:9]
	;;#ASMEND
	v_cvt_pk_f32_bf8_e32 v[24:25], v42
	v_mul_f32_e32 v6, v3, v6
	v_med3_f32 v8, v6, s65, v47
	v_cmp_nlg_f32_e64 vcc, |v6|, s64
	s_nop 1
	v_cndmask_b32_e32 v6, v8, v6, vcc
	v_cvt_pk_bf8_f32 v23, v6, v6
	v_cvt_pk_f32_bf8_e32 v[8:9], v41
	v_mov_b32_e32 v41, 0
	v_and_b32_e32 v6, 0xff, v23
	v_cvt_pk_f32_bf8_e32 v[22:23], v6
	v_cvt_f32_bf8_sdwa v6, v51 src0_sel:BYTE_0
	;;#ASMSTART
	v_pk_add_f32 v[22:23], v[22:23], v[8:9]
	;;#ASMEND
	v_mov_b32_e32 v9, 0
	v_mul_f32_e32 v6, v3, v6
	v_med3_f32 v8, v6, s65, v47
	v_cmp_nlg_f32_e64 vcc, |v6|, s64
	s_nop 1
	v_cndmask_b32_e32 v6, v8, v6, vcc
	v_cvt_pk_bf8_f32 v50, v6, v6
	v_mov_b32_e32 v8, 0
	v_cvt_pk_bf8_f32 v8, v18, v18
	v_and_b32_e32 v6, 0xff, v50
	v_cvt_pk_f32_bf8_e32 v[50:51], v6
	v_cvt_f32_bf8_sdwa v6, v53 src0_sel:BYTE_0
	;;#ASMSTART
	v_pk_add_f32 v[24:25], v[50:51], v[24:25]
	;;#ASMEND
	v_cvt_pk_f32_bf8_e32 v[50:51], v43
	v_cvt_pk_f32_bf8_e32 v[52:53], v52
	v_mul_f32_e32 v6, v3, v6
	v_med3_f32 v19, v6, s65, v47
	v_cmp_nlg_f32_e64 vcc, |v6|, s64
	s_nop 1
	v_cndmask_b32_e32 v6, v19, v6, vcc
	v_cvt_pk_bf8_f32 v32, v6, v6
	v_and_b32_e32 v6, 0xff, v32
	v_cvt_pk_f32_bf8_e32 v[42:43], v6
	v_cvt_f32_bf8_sdwa v6, v2 src0_sel:BYTE_0
	;;#ASMSTART
	v_pk_add_f32 v[50:51], v[42:43], v[50:51]
	;;#ASMEND
	v_mov_b32_e32 v2, 0xc7600000
	v_mov_b32_e32 v32, 0
	v_mul_f32_e32 v6, v3, v6
	v_med3_f32 v19, v6, s65, v47
	v_cmp_nlg_f32_e64 vcc, |v6|, s64
	s_nop 1
	v_cndmask_b32_e32 v6, v19, v6, vcc
	v_cvt_pk_bf8_f32 v4, v6, v6
	v_and_b32_e32 v4, 0xff, v4
	v_cvt_pk_f32_bf8_e32 v[42:43], v4
	v_cvt_f32_bf8_sdwa v4, v33 src0_sel:BYTE_0
	;;#ASMSTART
	v_pk_add_f32 v[52:53], v[42:43], v[52:53]
	;;#ASMEND
	v_cvt_pk_f32_bf8_e32 v[42:43], v37
	v_mov_b32_e32 v53, 0
	v_mul_f32_e32 v4, v3, v4
	v_med3_f32 v6, v4, s65, v47
	v_cmp_nlg_f32_e64 vcc, |v4|, s64
	v_cvt_pk_bf8_f32 v53, v20, v20
	v_mov_b32_e32 v33, 0
	v_cndmask_b32_e32 v4, v6, v4, vcc
	v_cvt_pk_bf8_f32 v30, v4, v4
	v_and_b32_e32 v4, 0xff, v30
	v_cvt_pk_f32_bf8_e32 v[46:47], v4
	v_cvt_f32_bf8_sdwa v4, v31 src0_sel:BYTE_0
	v_cvt_pk_f32_bf8_e32 v[30:31], v36
	;;#ASMSTART
	v_pk_add_f32 v[42:43], v[46:47], v[42:43]
	;;#ASMEND
	v_mov_b32_e32 v47, 0
	v_mul_f32_e32 v4, v3, v4
	v_med3_f32 v6, v4, s65, v2
	v_cmp_nlg_f32_e64 vcc, |v4|, s64
	v_mov_b32_e32 v43, 0
	v_mov_b32_e32 v46, 0
	v_cndmask_b32_e32 v4, v6, v4, vcc
	v_cvt_pk_bf8_f32 v5, v4, v4
	v_and_b32_e32 v4, 0xff, v5
	v_cvt_pk_f32_bf8_e32 v[4:5], v4
	;;#ASMSTART
	v_pk_add_f32 v[30:31], v[4:5], v[30:31]
	;;#ASMEND
	v_cvt_f32_bf8_sdwa v4, v28 src0_sel:BYTE_0
	v_cvt_pk_f32_bf8_e32 v[28:29], v29
	v_mov_b32_e32 v5, 0
	v_cvt_pk_bf8_f32 v5, v22, v22
	v_mul_f32_e32 v4, v3, v4
	v_med3_f32 v6, v4, s65, v2
	v_cmp_nlg_f32_e64 vcc, |v4|, s64
	s_nop 1
	v_cndmask_b32_e32 v4, v6, v4, vcc
	v_cvt_pk_bf8_f32 v27, v4, v4
	v_and_b32_e32 v4, 0xff, v27
	v_cvt_pk_f32_bf8_e32 v[36:37], v4
	v_cvt_f32_bf8_sdwa v4, v55 src0_sel:BYTE_0
	;;#ASMSTART
	v_pk_add_f32 v[28:29], v[36:37], v[28:29]
	;;#ASMEND
	v_cvt_pk_f32_bf8_e32 v[36:37], v44
	v_mov_b32_e32 v44, 0
	v_mul_f32_e32 v4, v3, v4
	v_med3_f32 v6, v4, s65, v2
	v_cmp_nlg_f32_e64 vcc, |v4|, s64
	v_cvt_pk_bf8_f32 v44, v24, v24
	v_cvt_pk_bf8_f32 v41, v28, v28
	v_cndmask_b32_e32 v4, v6, v4, vcc
	v_cvt_pk_bf8_f32 v26, v4, v4
	v_and_b32_e32 v4, 0xff, v26
	v_cvt_pk_f32_bf8_e32 v[26:27], v4
	v_cvt_f32_bf8_sdwa v4, v35 src0_sel:BYTE_0
	;;#ASMSTART
	v_pk_add_f32 v[26:27], v[26:27], v[36:37]
	;;#ASMEND
	v_cvt_pk_f32_bf8_e32 v[36:37], v54
	v_cvt_pk_bf8_f32 v62, v26, v26
	v_mul_f32_e32 v4, v3, v4
	v_med3_f32 v6, v4, s65, v2
	v_cmp_nlg_f32_e64 vcc, |v4|, s64
	s_nop 1
	v_cndmask_b32_e32 v4, v6, v4, vcc
	v_cvt_pk_bf8_f32 v34, v4, v4
	v_and_b32_e32 v4, 0xff, v34
	v_cvt_pk_f32_bf8_e32 v[34:35], v4
	v_cvt_f32_bf8_sdwa v4, v45 src0_sel:BYTE_0
	;;#ASMSTART
	v_pk_add_f32 v[34:35], v[34:35], v[36:37]
	;;#ASMEND
	v_cvt_pk_f32_bf8_e32 v[36:37], v56
	v_mov_b32_e32 v35, 0
	v_mul_f32_e32 v4, v3, v4
	v_med3_f32 v6, v4, s65, v2
	v_cmp_nlg_f32_e64 vcc, |v4|, s64
	v_cvt_pk_bf8_f32 v35, v50, v50
	v_mov_b32_e32 v45, 0
	v_cndmask_b32_e32 v4, v6, v4, vcc
	v_cvt_pk_bf8_f32 v1, v4, v4
	v_cvt_f32_i32_e32 v6, v35
	v_and_b32_e32 v1, 0xff, v1
	v_cvt_pk_f32_bf8_e32 v[54:55], v1
	v_cvt_f32_bf8_sdwa v1, v40 src0_sel:BYTE_0
	;;#ASMSTART
	v_pk_add_f32 v[56:57], v[54:55], v[36:37]
	;;#ASMEND
	v_cvt_pk_f32_bf8_e32 v[36:37], v58
	v_cvt_pk_bf8_f32 v59, v56, v56
	v_mul_f32_e32 v1, v3, v1
	v_med3_f32 v4, v1, s65, v2
	v_cmp_nlg_f32_e64 vcc, |v1|, s64
	v_mov_b32_e32 v56, 0
	v_mov_b32_e32 v58, 0
	v_cndmask_b32_e32 v1, v4, v1, vcc
	v_cvt_pk_bf8_f32 v0, v1, v1
	v_cvt_pk_bf8_f32 v58, v52, v52
	v_mov_b32_e32 v57, 0
	v_med3_f32 v6, v6, s65, v2
	v_and_b32_e32 v0, 0xff, v0
	v_cvt_pk_f32_bf8_e32 v[0:1], v0
	;;#ASMSTART
	v_pk_add_f32 v[0:1], v[0:1], v[36:37]
	;;#ASMEND
	v_cvt_pk_f32_bf8_e32 v[36:37], v61
	v_cvt_f32_bf8_sdwa v1, v60 src0_sel:BYTE_0
	v_cvt_pk_bf8_f32 v33, v6, v6
	v_mov_b32_e32 v40, 0
	v_mov_b32_e32 v52, 0
	v_mul_f32_e32 v1, v3, v1
	v_med3_f32 v4, v1, s65, v2
	v_cmp_nlg_f32_e64 vcc, |v1|, s64
	s_nop 1
	v_cndmask_b32_e32 v1, v4, v1, vcc
	v_cvt_pk_bf8_f32 v10, v1, v1
	v_mov_b32_e32 v4, 0
	v_cvt_pk_bf8_f32 v4, v42, v42
	v_mov_b32_e32 v42, 0
	v_and_b32_e32 v1, 0xff, v10
	v_cvt_pk_f32_bf8_e32 v[54:55], v1
	v_cvt_f32_bf8_sdwa v1, v38 src0_sel:BYTE_0
	;;#ASMSTART
	v_pk_add_f32 v[60:61], v[54:55], v[36:37]
	;;#ASMEND
	v_cvt_pk_f32_bf8_e32 v[36:37], v39
	v_mov_b32_e32 v61, 0
	v_mul_f32_e32 v1, v3, v1
	v_med3_f32 v3, v1, s65, v2
	v_cmp_nlg_f32_e64 vcc, |v1|, s64
	v_cvt_pk_bf8_f32 v61, v0, v0
	v_cvt_f32_i32_e32 v0, v7
	v_cndmask_b32_e32 v1, v3, v1, vcc
	v_cvt_pk_bf8_f32 v17, v1, v1
	v_add_co_u32_e32 v16, vcc, s67, v14
	v_med3_f32 v0, v0, s65, v2
	v_and_b32_e32 v1, 0xff, v17
	v_addc_co_u32_e32 v17, vcc, -1, v15, vcc
	v_add_co_u32_e32 v18, vcc, s68, v14
	v_cvt_pk_f32_bf8_e32 v[38:39], v1
	s_nop 0
	v_addc_co_u32_e32 v19, vcc, -1, v15, vcc
	v_add_co_u32_e32 v20, vcc, s69, v14
	v_cvt_f32_i32_e32 v1, v8
	s_nop 0
	v_addc_co_u32_e32 v21, vcc, -1, v15, vcc
	v_add_co_u32_e32 v22, vcc, s70, v14
	;;#ASMSTART
	v_pk_add_f32 v[38:39], v[38:39], v[36:37]
	;;#ASMEND
	v_mov_b32_e32 v37, 0
	s_nop 0
	v_addc_co_u32_e32 v23, vcc, -1, v15, vcc
	v_add_co_u32_e32 v24, vcc, s71, v14
	v_cvt_pk_bf8_f32 v37, v30, v30
	s_nop 0
	v_addc_co_u32_e32 v25, vcc, -1, v15, vcc
	v_add_co_u32_e32 v30, vcc, s72, v14
	v_med3_f32 v1, v1, s65, v2
	s_nop 0
	v_addc_co_u32_e32 v31, vcc, -1, v15, vcc
	v_cvt_pk_bf8_f32 v56, v0, v0
	v_cvt_pk_bf8_f32 v11, v1, v1
	v_accvgpr_read_b32 v0, a54
	v_cvt_pk_bf8_f32 v47, v60, v60
	v_accvgpr_read_b32 v60, a51
	v_add_co_u32_e32 v28, vcc, s73, v14
	v_accvgpr_read_b32 v1, a55
	s_nop 0
	v_addc_co_u32_e32 v29, vcc, -1, v15, vcc
	v_sub_u32_e32 v60, v60, v0
	v_cvt_f32_i32_e32 v0, v53
	v_cvt_f32_i32_e32 v1, v5
	;; [unrolled: 1-line block ×3, first 2 shown]
	v_add_co_u32_e32 v50, vcc, s74, v14
	v_cvt_f32_i32_e32 v8, v62
	s_nop 0
	v_addc_co_u32_e32 v51, vcc, -1, v15, vcc
	v_mov_b32_e32 v36, 0
	v_add_co_u32_e32 v26, vcc, s75, v14
	v_cvt_pk_bf8_f32 v36, v34, v34
	s_nop 0
	v_addc_co_u32_e32 v27, vcc, -1, v15, vcc
	v_med3_f32 v0, v0, s65, v2
	v_mov_b32_e32 v53, 0
	v_med3_f32 v5, v5, s65, v2
	v_cvt_f32_i32_e32 v4, v4
	v_mov_b32_e32 v55, 0
	v_med3_f32 v1, v1, s65, v2
	v_cvt_pk_bf8_f32 v53, v0, v0
	v_add_co_u32_e32 v0, vcc, s76, v14
	v_cvt_pk_bf8_f32 v43, v5, v5
	v_cvt_f32_i32_e32 v5, v58
	v_med3_f32 v8, v8, s65, v2
	v_cvt_pk_bf8_f32 v57, v38, v38
	v_cvt_pk_bf8_f32 v32, v1, v1
	v_addc_co_u32_e32 v1, vcc, -1, v15, vcc
	v_cvt_f32_i32_e32 v6, v37
	v_cvt_pk_bf8_f32 v55, v8, v8
	v_cvt_f32_i32_e32 v8, v59
	v_cvt_f32_i32_e32 v38, v61
	v_add_co_u32_e32 v34, vcc, s77, v14
	v_cvt_f32_i32_e32 v7, v41
	v_mov_b32_e32 v3, 0
	v_addc_co_u32_e32 v35, vcc, -1, v15, vcc
	v_med3_f32 v4, v4, s65, v2
	v_cvt_f32_i32_e32 v36, v36
	v_med3_f32 v5, v5, s65, v2
	v_cvt_pk_bf8_f32 v3, v4, v4
	v_add_co_u32_e32 v4, vcc, 0xffffff00, v14
	v_mov_b32_e32 v39, 0
	v_cvt_pk_bf8_f32 v9, v5, v5
	v_addc_co_u32_e32 v5, vcc, -1, v15, vcc
	v_med3_f32 v6, v6, s65, v2
	v_med3_f32 v8, v8, s65, v2
	;; [unrolled: 1-line block ×3, first 2 shown]
	v_mov_b32_e32 v54, 0
	v_med3_f32 v7, v7, s65, v2
	v_cvt_pk_bf8_f32 v39, v6, v6
	v_add_co_u32_e32 v6, vcc, 0xffffff40, v14
	v_cvt_pk_bf8_f32 v45, v8, v8
	v_cvt_pk_bf8_f32 v46, v38, v38
	v_cvt_f32_i32_e32 v8, v47
	v_cvt_f32_i32_e32 v38, v57
	v_cvt_pk_bf8_f32 v54, v7, v7
	v_addc_co_u32_e32 v7, vcc, -1, v15, vcc
	v_med3_f32 v36, v36, s65, v2
	v_cvt_pk_bf8_f32 v40, v36, v36
	v_add_co_u32_e32 v36, vcc, 0xffffff80, v14
	v_accvgpr_write_b32 a51, v11
	v_accvgpr_read_b32 v10, a56
	v_addc_co_u32_e32 v37, vcc, -1, v15, vcc
	v_mov_b32_e32 v47, 0xc7600000
	v_accvgpr_read_b32 v11, a57
	v_cmp_gt_i32_e64 s[18:19], 1, v60
	v_add_co_u32_e32 v58, vcc, 0xffffffc0, v14
	v_med3_f32 v8, v8, s65, v47
	v_med3_f32 v38, v38, s65, v47
	v_lshl_add_u64 v[48:49], v[48:49], 0, v[10:11]
	v_lshl_add_u64 v[12:13], v[12:13], 0, v[10:11]
	s_or_b64 s[46:47], s[18:19], s[46:47]
	v_addc_co_u32_e32 v59, vcc, -1, v15, vcc
	v_cvt_pk_bf8_f32 v52, v8, v8
	v_cvt_pk_bf8_f32 v42, v38, v38
	flat_store_byte v[16:17], v56 nt
	flat_store_byte v[18:19], a51 nt
	flat_store_byte v[20:21], v53 nt
	flat_store_byte v[22:23], v32 nt
	flat_store_byte v[24:25], v43 nt
	flat_store_byte v[30:31], v33 nt
	flat_store_byte v[28:29], v9 nt
	flat_store_byte v[50:51], v3 nt
	flat_store_byte v[26:27], v39 nt
	flat_store_byte v[0:1], v54 nt
	flat_store_byte v[34:35], v55 nt
	flat_store_byte v[4:5], v40 nt
	flat_store_byte v[6:7], v45 nt
	flat_store_byte v[36:37], v46 nt
	flat_store_byte v[58:59], v52 nt
	flat_store_byte v[14:15], v42 nt
	v_lshl_add_u64 v[14:15], v[14:15], 0, v[10:11]
	s_andn2_b64 exec, exec, s[46:47]
	s_cbranch_execnz .LBB4_136
; %bb.137:                              ;   in Loop: Header=BB4_49 Depth=1
	s_or_b64 exec, exec, s[46:47]
	v_accvgpr_read_b32 v25, a7
	v_accvgpr_read_b32 v59, a9
	;; [unrolled: 1-line block ×38, first 2 shown]
	v_mov_b32_e32 v37, 1
	v_accvgpr_read_b32 v44, a46
	v_accvgpr_read_b32 v56, a48
	;; [unrolled: 1-line block ×8, first 2 shown]
.LBB4_138:                              ;   in Loop: Header=BB4_49 Depth=1
	s_or_b64 exec, exec, s[42:43]
	v_lshlrev_b32_e32 v0, 10, v3
	v_cmp_ne_u32_e32 vcc, v4, v0
	s_and_b64 exec, exec, vcc
	s_cbranch_execz .LBB4_142
; %bb.139:                              ;   in Loop: Header=BB4_49 Depth=1
	v_add_u32_e32 v1, v5, v1
	v_and_b32_e32 v1, 0xffffffc0, v1
	v_sub_u32_e32 v1, v5, v1
	v_lshlrev_b32_e32 v2, 6, v60
	v_sub_u32_e32 v1, v1, v2
	v_add_u32_e32 v0, v0, v1
	v_sub_u32_e32 v2, v4, v0
	v_cmp_lt_i32_e32 vcc, 0, v2
	s_and_b64 exec, exec, vcc
	s_cbranch_execz .LBB4_142
; %bb.140:                              ;   in Loop: Header=BB4_49 Depth=1
	s_trap 2
	ds_read_b128 v[4:7], v0
	ds_read_b64 v[8:9], v0
	v_add_u32_e32 v12, v0, v39
	v_ashrrev_i32_e32 v13, 31, v12
	s_mov_b64 s[18:19], 0
	s_waitcnt lgkmcnt(0)
	v_lshl_add_u64 v[0:1], v[4:5], 0, v[12:13]
	v_lshl_add_u64 v[10:11], v[6:7], 0, v[12:13]
	;; [unrolled: 1-line block ×3, first 2 shown]
.LBB4_141:                              ;   Parent Loop BB4_49 Depth=1
                                        ; =>  This Inner Loop Header: Depth=2
	s_trap 2
	flat_load_ubyte v3, v[0:1] nt
	flat_load_ubyte v4, v[10:11] nt
	ds_read_b32 v5, v0
	v_mov_b32_e32 v6, 0
	v_sub_u32_e32 v2, v2, v40
	v_lshl_add_u64 v[0:1], v[0:1], 0, v[40:41]
	v_lshl_add_u64 v[10:11], v[10:11], 0, v[40:41]
	s_waitcnt lgkmcnt(0)
	v_and_b32_e32 v5, 0xff, v5
	v_cvt_f32_bf8_sdwa v5, v5 src0_sel:BYTE_0
	s_waitcnt vmcnt(0)
	v_cvt_f32_bf8_sdwa v3, v3 src0_sel:BYTE_0
	s_nop 0
	v_mul_f32_e32 v3, v5, v3
	v_med3_f32 v5, v3, s65, v47
	v_cmp_nlg_f32_e64 vcc, |v3|, s64
	s_nop 1
	v_cndmask_b32_e32 v3, v5, v3, vcc
	v_cvt_pk_bf8_f32 v6, v3, v3
	v_cvt_pk_f32_bf8_e32 v[4:5], v4
	v_cmp_gt_i32_e32 vcc, 1, v2
	s_or_b64 s[18:19], vcc, s[18:19]
	v_and_b32_e32 v3, 0xff, v6
	v_cvt_pk_f32_bf8_e32 v[6:7], v3
	v_mov_b32_e32 v3, 0
	;;#ASMSTART
	v_pk_add_f32 v[4:5], v[6:7], v[4:5]
	;;#ASMEND
	s_nop 0
	v_cvt_pk_bf8_f32 v3, v4, v4
	v_mov_b32_e32 v4, 0
	v_cvt_f32_i32_e32 v3, v3
	v_med3_f32 v3, v3, s65, v47
	v_cvt_pk_bf8_f32 v4, v3, v3
	flat_store_byte v[12:13], v4 nt
	v_lshl_add_u64 v[12:13], v[12:13], 0, v[40:41]
	s_andn2_b64 exec, exec, s[18:19]
	s_cbranch_execnz .LBB4_141
.LBB4_142:                              ;   in Loop: Header=BB4_49 Depth=1
	s_or_b64 exec, exec, s[40:41]
	v_accvgpr_read_b32 v6, a40
	v_cmp_ne_u32_e64 s[18:19], 0, v30
	v_accvgpr_read_b32 v7, a41
.LBB4_143:                              ;   in Loop: Header=BB4_49 Depth=1
	s_and_saveexec_b64 s[40:41], s[6:7]
	s_cbranch_execz .LBB4_162
; %bb.144:                              ;   in Loop: Header=BB4_49 Depth=1
	s_and_saveexec_b64 vcc, s[26:27]
	s_xor_b64 s[42:43], exec, vcc
	s_cbranch_execz .LBB4_159
; %bb.145:                              ;   in Loop: Header=BB4_49 Depth=1
	s_and_saveexec_b64 s[46:47], s[10:11]
	s_cbranch_execz .LBB4_158
; %bb.146:                              ;   in Loop: Header=BB4_49 Depth=1
	s_mov_b64 s[50:51], exec
	v_mbcnt_lo_u32_b32 v0, s50, 0
	v_mbcnt_hi_u32_b32 v0, s51, v0
	v_cmp_eq_u32_e32 vcc, 0, v0
	s_waitcnt lgkmcnt(0)
	s_and_saveexec_b64 s[48:49], vcc
	s_cbranch_execz .LBB4_148
; %bb.147:                              ;   in Loop: Header=BB4_49 Depth=1
	s_bcnt1_i32_b64 vcc_lo, s[50:51]
	v_mov_b32_e32 v30, vcc_lo
	ds_add_u64 v0, v[30:31]
	s_trap 2
.LBB4_148:                              ;   in Loop: Header=BB4_49 Depth=1
	s_or_b64 exec, exec, s[48:49]
	s_trap 2
	ds_read_b64 v[0:1], v0
	v_lshl_add_u64 v[16:17], v[16:17], 0, v[20:21]
	s_waitcnt lgkmcnt(0)
	v_cmp_lt_u64_e32 vcc, v[0:1], v[16:17]
	s_and_saveexec_b64 s[48:49], vcc
	s_cbranch_execz .LBB4_157
; %bb.149:                              ;   in Loop: Header=BB4_49 Depth=1
	s_mov_b32 s78, 0
	s_mov_b64 s[50:51], 0
                                        ; implicit-def: $sgpr52_sgpr53
                                        ; implicit-def: $sgpr54_sgpr55
	s_branch .LBB4_151
.LBB4_150:                              ;   in Loop: Header=BB4_151 Depth=2
	s_or_b64 exec, exec, s[58:59]
	s_and_b64 vcc, exec, vcc
	s_or_b64 s[50:51], vcc, s[50:51]
	s_andn2_b64 vcc, s[52:53], exec
	s_and_b64 s[52:53], s[54:55], exec
	s_or_b64 s[52:53], vcc, s[52:53]
	s_andn2_b64 exec, exec, s[50:51]
	s_cbranch_execz .LBB4_155
.LBB4_151:                              ;   Parent Loop BB4_49 Depth=1
                                        ; =>  This Inner Loop Header: Depth=2
	s_add_i32 s78, s78, 1
	s_cmpk_lg_i32 s78, 0x2710
	s_cselect_b64 s[56:57], -1, 0
	s_and_b64 vcc, exec, s[56:57]
                                        ; implicit-def: $sgpr58_sgpr59
	s_cbranch_vccnz .LBB4_153
; %bb.152:                              ;   in Loop: Header=BB4_151 Depth=2
	s_trap 2
	ds_read_b64 v[0:1], v0
	s_andn2_b64 s[56:57], s[56:57], exec
	s_mov_b32 s78, 0
	s_mov_b64 s[58:59], -1
	s_waitcnt vmcnt(0) lgkmcnt(0)
	flat_load_dword v0, v[0:1] sc0 sc1
	s_waitcnt vmcnt(0) lgkmcnt(0)
	buffer_inv sc0 sc1
	v_cmp_eq_u32_e32 vcc, 0, v0
	s_and_b64 vcc, vcc, exec
	s_or_b64 s[56:57], s[56:57], vcc
.LBB4_153:                              ;   in Loop: Header=BB4_151 Depth=2
	s_andn2_b64 s[54:55], s[54:55], exec
	s_and_b64 s[58:59], s[58:59], exec
	s_mov_b64 vcc, -1
	s_or_b64 s[54:55], s[54:55], s[58:59]
	s_and_saveexec_b64 s[58:59], s[56:57]
	s_cbranch_execz .LBB4_150
; %bb.154:                              ;   in Loop: Header=BB4_151 Depth=2
	s_sleep 1
	s_trap 2
	ds_read_b64 v[0:1], v0
	s_andn2_b64 s[54:55], s[54:55], exec
	s_waitcnt lgkmcnt(0)
	v_cmp_ge_u64_e32 vcc, v[0:1], v[16:17]
	s_orn2_b64 vcc, vcc, exec
	s_branch .LBB4_150
.LBB4_155:                              ;   in Loop: Header=BB4_49 Depth=1
	s_or_b64 exec, exec, s[50:51]
	s_and_saveexec_b64 vcc, s[52:53]
	s_xor_b64 vcc, exec, vcc
	s_cbranch_execz .LBB4_157
; %bb.156:                              ;   in Loop: Header=BB4_49 Depth=1
	ds_write_b32 v0, v37
	s_trap 2
.LBB4_157:                              ;   in Loop: Header=BB4_49 Depth=1
	s_or_b64 exec, exec, s[48:49]
	;;#ASMSTART
	s_wakeup
	;;#ASMEND
.LBB4_158:                              ;   in Loop: Header=BB4_49 Depth=1
	s_or_b64 exec, exec, s[46:47]
.LBB4_159:                              ;   in Loop: Header=BB4_49 Depth=1
	s_andn2_saveexec_b64 vcc, s[42:43]
	s_cbranch_execz .LBB4_161
; %bb.160:                              ;   in Loop: Header=BB4_49 Depth=1
	s_waitcnt lgkmcnt(0)
	s_barrier
.LBB4_161:                              ;   in Loop: Header=BB4_49 Depth=1
	s_or_b64 exec, exec, vcc
.LBB4_162:                              ;   in Loop: Header=BB4_49 Depth=1
	s_or_b64 exec, exec, s[40:41]
	v_and_b32_e32 v0, 16, v62
	v_cmp_ne_u32_e32 vcc, 0, v0
	s_and_b64 vcc, vcc, s[18:19]
	s_and_saveexec_b64 s[18:19], vcc
	s_cbranch_execz .LBB4_164
; %bb.163:                              ;   in Loop: Header=BB4_49 Depth=1
	buffer_wbl2 sc1
	s_waitcnt vmcnt(0) lgkmcnt(0)
	buffer_inv sc1
.LBB4_164:                              ;   in Loop: Header=BB4_49 Depth=1
	s_or_b64 exec, exec, s[18:19]
	v_cmp_ne_u32_e32 vcc, 0, v0
	s_xor_b64 s[18:19], s[16:17], -1
	s_and_b64 vcc, vcc, s[18:19]
	s_and_saveexec_b64 s[18:19], vcc
	s_cbranch_execz .LBB4_166
; %bb.165:                              ;   in Loop: Header=BB4_49 Depth=1
	flat_store_dword v[52:53], v37 sc0 sc1
.LBB4_166:                              ;   in Loop: Header=BB4_49 Depth=1
	s_or_b64 exec, exec, s[18:19]
	v_and_b32_e32 v0, 48, v62
	v_cmp_ne_u32_e32 vcc, 0, v0
	s_and_saveexec_b64 s[18:19], vcc
	s_cbranch_execz .LBB4_168
; %bb.167:                              ;   in Loop: Header=BB4_49 Depth=1
	v_lshl_add_u64 v[34:35], v[34:35], 0, 1
	flat_store_dwordx2 v[28:29], v[34:35] sc0 sc1
.LBB4_168:                              ;   in Loop: Header=BB4_49 Depth=1
	s_or_b64 exec, exec, s[18:19]
	v_mov_b32_e32 v0, v56
.LBB4_169:                              ;   in Loop: Header=BB4_49 Depth=1
	s_or_b64 exec, exec, s[38:39]
	s_and_saveexec_b64 s[38:39], s[36:37]
	s_cbranch_execz .LBB4_48
; %bb.170:                              ;   in Loop: Header=BB4_49 Depth=1
	v_and_b32_e32 v1, 12, v62
	v_cmp_ne_u32_e32 vcc, 0, v1
	s_mov_b64 s[36:37], -1
	v_lshl_add_u64 v[10:11], v[34:35], 0, 1
	s_and_saveexec_b64 s[18:19], vcc
	s_cbranch_execz .LBB4_182
; %bb.171:                              ;   in Loop: Header=BB4_49 Depth=1
	v_and_b32_e32 v30, 8, v62
	v_lshl_add_u64 v[2:3], v[50:51], 0, v[30:31]
	v_lshl_add_u64 v[12:13], v[34:35], 0, 1
	v_cmp_lt_u64_e32 vcc, v[2:3], v[12:13]
	v_mov_b32_e32 v1, 1
	s_and_saveexec_b64 s[36:37], vcc
	s_cbranch_execz .LBB4_181
; %bb.172:                              ;   in Loop: Header=BB4_49 Depth=1
	s_mov_b64 s[40:41], 0
	v_mov_b32_e32 v1, 0
                                        ; implicit-def: $sgpr42_sgpr43
	s_branch .LBB4_176
.LBB4_173:                              ;   in Loop: Header=BB4_176 Depth=2
	s_or_b64 exec, exec, s[52:53]
	v_mov_b32_e32 v2, 0
	s_orn2_b64 s[50:51], s[50:51], exec
.LBB4_174:                              ;   in Loop: Header=BB4_176 Depth=2
	s_or_b64 exec, exec, s[48:49]
	s_andn2_b64 vcc, s[42:43], exec
	s_and_b64 s[42:43], s[50:51], exec
	s_or_b64 s[42:43], vcc, s[42:43]
	v_mov_b32_e32 v1, v2
.LBB4_175:                              ;   in Loop: Header=BB4_176 Depth=2
	s_or_b64 exec, exec, s[46:47]
	s_waitcnt vmcnt(0) lgkmcnt(0)
	v_lshl_add_u64 v[2:3], v[50:51], 0, v[30:31]
	v_cmp_ge_u64_e32 vcc, v[2:3], v[12:13]
	s_xor_b64 s[46:47], s[42:43], -1
	s_or_b64 vcc, s[46:47], vcc
	s_and_b64 vcc, exec, vcc
	s_or_b64 s[40:41], vcc, s[40:41]
	s_andn2_b64 exec, exec, s[40:41]
	s_cbranch_execz .LBB4_180
.LBB4_176:                              ;   Parent Loop BB4_49 Depth=1
                                        ; =>  This Inner Loop Header: Depth=2
	s_sleep 1
	flat_load_dwordx2 v[50:51], v[28:29] sc0 sc1
	v_and_b32_e32 v2, 64, v62
	v_cmp_eq_u32_e32 vcc, 0, v2
	s_andn2_b64 s[42:43], s[42:43], exec
	s_and_saveexec_b64 s[46:47], vcc
	s_cbranch_execz .LBB4_175
; %bb.177:                              ;   in Loop: Header=BB4_176 Depth=2
	v_add_u32_e32 v2, 1, v1
	v_cmp_lt_i32_e32 vcc, s62, v1
	s_mov_b64 s[50:51], -1
	s_and_saveexec_b64 s[48:49], vcc
	s_cbranch_execz .LBB4_174
; %bb.178:                              ;   in Loop: Header=BB4_176 Depth=2
	s_trap 2
	ds_read_b64 v[2:3], v0
	s_waitcnt vmcnt(0) lgkmcnt(0)
	flat_load_dword v1, v[2:3] sc0 sc1
	s_waitcnt vmcnt(0) lgkmcnt(0)
	buffer_inv sc0 sc1
	v_cmp_ne_u32_e32 vcc, 0, v1
	s_and_saveexec_b64 s[52:53], vcc
	s_cbranch_execz .LBB4_173
; %bb.179:                              ;   in Loop: Header=BB4_176 Depth=2
	v_or_b32_e32 v62, 64, v62
	s_xor_b64 s[50:51], exec, -1
	ds_write_b32 v0, v1
	s_trap 2
	s_branch .LBB4_173
.LBB4_180:                              ;   in Loop: Header=BB4_49 Depth=1
	s_or_b64 exec, exec, s[40:41]
	v_and_b32_e32 v1, 12, v62
.LBB4_181:                              ;   in Loop: Header=BB4_49 Depth=1
	s_or_b64 exec, exec, s[36:37]
	v_cmp_eq_u32_e32 vcc, 0, v1
	s_orn2_b64 s[36:37], vcc, exec
	;;#ASMSTART
	s_wakeup
	;;#ASMEND
.LBB4_182:                              ;   in Loop: Header=BB4_49 Depth=1
	s_or_b64 exec, exec, s[18:19]
	v_sub_u32_e32 v0, v44, v0
	s_xor_b64 s[18:19], s[36:37], -1
	v_min_i32_e32 v2, v56, v0
	s_and_saveexec_b64 s[36:37], s[18:19]
	s_cbranch_execz .LBB4_194
; %bb.183:                              ;   in Loop: Header=BB4_49 Depth=1
	v_and_b32_e32 v0, 0x108, v62
	v_cmp_ne_u32_e32 vcc, s63, v0
	v_and_b32_e32 v0, 7, v34
	s_and_saveexec_b64 s[18:19], vcc
	s_xor_b64 s[18:19], exec, s[18:19]
	s_andn2_saveexec_b64 s[18:19], s[18:19]
	s_cbranch_execz .LBB4_185
; %bb.184:                              ;   in Loop: Header=BB4_49 Depth=1
	v_mad_u64_u32 v[4:5], vcc, v0, 24, v[32:33]
	v_ashrrev_i32_e32 v3, 31, v2
	flat_store_dwordx2 v[4:5], v[2:3] offset:8
.LBB4_185:                              ;   in Loop: Header=BB4_49 Depth=1
	s_or_b64 exec, exec, s[18:19]
	v_and_b32_e32 v1, 0x100, v62
	v_cmp_ne_u32_e32 vcc, 0, v1
	s_mov_b64 s[18:19], -1
                                        ; implicit-def: $vgpr8_vgpr9
	s_and_saveexec_b64 s[40:41], vcc
	s_cbranch_execz .LBB4_189
; %bb.186:                              ;   in Loop: Header=BB4_49 Depth=1
	v_mad_u64_u32 v[12:13], s[18:19], v0, 24, v[32:33]
	v_mov_b32_e32 v4, v13
	v_mad_u64_u32 v[4:5], s[18:19], v31, 24, v[4:5]
	v_mov_b32_e32 v13, v4
	flat_load_dword v1, v[12:13]
                                        ; implicit-def: $vgpr8_vgpr9
	s_waitcnt vmcnt(0) lgkmcnt(0)
	v_cmp_ne_u32_e32 vcc, 1, v1
	v_cmp_eq_u32_e64 s[18:19], 1, v1
	s_and_saveexec_b64 s[42:43], s[18:19]
	s_cbranch_execz .LBB4_188
; %bb.187:                              ;   in Loop: Header=BB4_49 Depth=1
	flat_load_dword v8, v[12:13] offset:4 sc0 sc1
	s_waitcnt vmcnt(0) lgkmcnt(0)
	v_ashrrev_i32_e32 v9, 31, v8
.LBB4_188:                              ;   in Loop: Header=BB4_49 Depth=1
	s_or_b64 exec, exec, s[42:43]
	s_orn2_b64 s[18:19], vcc, exec
.LBB4_189:                              ;   in Loop: Header=BB4_49 Depth=1
	s_or_b64 exec, exec, s[40:41]
	s_and_saveexec_b64 vcc, s[18:19]
; %bb.190:                              ;   in Loop: Header=BB4_49 Depth=1
	v_mul_lo_u32 v1, v31, v36
	v_mul_lo_u32 v3, v0, v15
	v_mad_u64_u32 v[8:9], s[18:19], v0, v36, 0
	v_add3_u32 v9, v9, v3, v1
; %bb.191:                              ;   in Loop: Header=BB4_49 Depth=1
	s_or_b64 exec, exec, vcc
	v_lshl_add_u64 v[0:1], v[48:49], 0, v[8:9]
	s_trap 2
	ds_write_b64 v0, v[0:1]
	v_and_b32_e32 v0, 0x2000, v62
	v_cmp_ne_u32_e32 vcc, 0, v0
	s_and_saveexec_b64 s[18:19], vcc
	s_cbranch_execz .LBB4_193
; %bb.192:                              ;   in Loop: Header=BB4_49 Depth=1
	ds_read_b64 v[0:1], v0 offset:584
	s_waitcnt lgkmcnt(0)
	v_lshl_add_u64 v[0:1], v[0:1], 0, 1
	ds_write_b64 v0, v[0:1] offset:584
.LBB4_193:                              ;   in Loop: Header=BB4_49 Depth=1
	s_or_b64 exec, exec, s[18:19]
	v_mov_b64_e32 v[34:35], v[10:11]
.LBB4_194:                              ;   in Loop: Header=BB4_49 Depth=1
	s_or_b64 exec, exec, s[36:37]
	s_and_saveexec_b64 s[18:19], s[6:7]
	s_cbranch_execz .LBB4_213
; %bb.195:                              ;   in Loop: Header=BB4_49 Depth=1
	s_and_saveexec_b64 vcc, s[26:27]
	s_xor_b64 s[36:37], exec, vcc
	s_cbranch_execz .LBB4_210
; %bb.196:                              ;   in Loop: Header=BB4_49 Depth=1
	s_and_saveexec_b64 s[40:41], s[10:11]
	s_cbranch_execz .LBB4_209
; %bb.197:                              ;   in Loop: Header=BB4_49 Depth=1
	s_mov_b64 s[46:47], exec
	v_mbcnt_lo_u32_b32 v0, s46, 0
	v_mbcnt_hi_u32_b32 v0, s47, v0
	v_cmp_eq_u32_e32 vcc, 0, v0
	s_waitcnt lgkmcnt(0)
	s_and_saveexec_b64 s[42:43], vcc
	s_cbranch_execz .LBB4_199
; %bb.198:                              ;   in Loop: Header=BB4_49 Depth=1
	s_bcnt1_i32_b64 vcc_lo, s[46:47]
	v_mov_b32_e32 v30, vcc_lo
	ds_add_u64 v0, v[30:31]
	s_trap 2
.LBB4_199:                              ;   in Loop: Header=BB4_49 Depth=1
	s_or_b64 exec, exec, s[42:43]
	s_trap 2
	ds_read_b64 v[0:1], v0
	v_lshl_add_u64 v[16:17], v[16:17], 0, v[20:21]
	s_waitcnt lgkmcnt(0)
	v_cmp_lt_u64_e32 vcc, v[0:1], v[16:17]
	s_and_saveexec_b64 s[42:43], vcc
	s_cbranch_execz .LBB4_208
; %bb.200:                              ;   in Loop: Header=BB4_49 Depth=1
	s_mov_b32 s56, 0
	s_mov_b64 s[46:47], 0
                                        ; implicit-def: $sgpr48_sgpr49
                                        ; implicit-def: $sgpr50_sgpr51
	s_branch .LBB4_202
.LBB4_201:                              ;   in Loop: Header=BB4_202 Depth=2
	s_or_b64 exec, exec, s[54:55]
	s_and_b64 vcc, exec, vcc
	s_or_b64 s[46:47], vcc, s[46:47]
	s_andn2_b64 vcc, s[48:49], exec
	s_and_b64 s[48:49], s[50:51], exec
	s_or_b64 s[48:49], vcc, s[48:49]
	s_andn2_b64 exec, exec, s[46:47]
	s_cbranch_execz .LBB4_206
.LBB4_202:                              ;   Parent Loop BB4_49 Depth=1
                                        ; =>  This Inner Loop Header: Depth=2
	s_add_i32 s56, s56, 1
	s_cmpk_lg_i32 s56, 0x2710
	s_cselect_b64 s[52:53], -1, 0
	s_and_b64 vcc, exec, s[52:53]
                                        ; implicit-def: $sgpr54_sgpr55
	s_cbranch_vccnz .LBB4_204
; %bb.203:                              ;   in Loop: Header=BB4_202 Depth=2
	s_trap 2
	ds_read_b64 v[0:1], v0
	s_andn2_b64 s[52:53], s[52:53], exec
	s_mov_b32 s56, 0
	s_mov_b64 s[54:55], -1
	s_waitcnt vmcnt(0) lgkmcnt(0)
	flat_load_dword v0, v[0:1] sc0 sc1
	s_waitcnt vmcnt(0) lgkmcnt(0)
	buffer_inv sc0 sc1
	v_cmp_eq_u32_e32 vcc, 0, v0
	s_and_b64 vcc, vcc, exec
	s_or_b64 s[52:53], s[52:53], vcc
.LBB4_204:                              ;   in Loop: Header=BB4_202 Depth=2
	s_andn2_b64 s[50:51], s[50:51], exec
	s_and_b64 s[54:55], s[54:55], exec
	s_mov_b64 vcc, -1
	s_or_b64 s[50:51], s[50:51], s[54:55]
	s_and_saveexec_b64 s[54:55], s[52:53]
	s_cbranch_execz .LBB4_201
; %bb.205:                              ;   in Loop: Header=BB4_202 Depth=2
	s_sleep 1
	s_trap 2
	ds_read_b64 v[0:1], v0
	s_andn2_b64 s[50:51], s[50:51], exec
	s_waitcnt lgkmcnt(0)
	v_cmp_ge_u64_e32 vcc, v[0:1], v[16:17]
	s_orn2_b64 vcc, vcc, exec
	s_branch .LBB4_201
.LBB4_206:                              ;   in Loop: Header=BB4_49 Depth=1
	s_or_b64 exec, exec, s[46:47]
	s_and_saveexec_b64 vcc, s[48:49]
	s_xor_b64 vcc, exec, vcc
	s_cbranch_execz .LBB4_208
; %bb.207:                              ;   in Loop: Header=BB4_49 Depth=1
	ds_write_b32 v0, v37
	s_trap 2
.LBB4_208:                              ;   in Loop: Header=BB4_49 Depth=1
	s_or_b64 exec, exec, s[42:43]
	;;#ASMSTART
	s_wakeup
	;;#ASMEND
.LBB4_209:                              ;   in Loop: Header=BB4_49 Depth=1
	s_or_b64 exec, exec, s[40:41]
.LBB4_210:                              ;   in Loop: Header=BB4_49 Depth=1
	s_andn2_saveexec_b64 vcc, s[36:37]
	s_cbranch_execz .LBB4_212
; %bb.211:                              ;   in Loop: Header=BB4_49 Depth=1
	s_waitcnt lgkmcnt(0)
	s_barrier
.LBB4_212:                              ;   in Loop: Header=BB4_49 Depth=1
	s_or_b64 exec, exec, vcc
.LBB4_213:                              ;   in Loop: Header=BB4_49 Depth=1
	s_or_b64 exec, exec, s[18:19]
	s_trap 2
	ds_read_b32 v1, v0
	v_cmp_lt_i32_e32 vcc, 0, v2
	v_and_b32_e32 v0, 16, v62
	s_waitcnt lgkmcnt(0)
	v_readfirstlane_b32 s18, v1
	s_cmp_eq_u32 s18, 0
	s_cselect_b64 s[18:19], -1, 0
	s_and_b64 s[18:19], vcc, s[18:19]
	v_cmp_ne_u32_e32 vcc, 0, v0
	s_and_b64 vcc, vcc, s[18:19]
	s_and_saveexec_b64 s[18:19], vcc
	s_cbranch_execz .LBB4_215
; %bb.214:                              ;   in Loop: Header=BB4_49 Depth=1
	buffer_wbl2 sc1
	s_waitcnt vmcnt(0)
	buffer_inv sc1
.LBB4_215:                              ;   in Loop: Header=BB4_49 Depth=1
	s_or_b64 exec, exec, s[18:19]
	v_cmp_ne_u32_e32 vcc, 0, v0
	s_xor_b64 s[18:19], s[16:17], -1
	s_and_b64 vcc, vcc, s[18:19]
	s_and_saveexec_b64 s[18:19], vcc
	s_cbranch_execz .LBB4_217
; %bb.216:                              ;   in Loop: Header=BB4_49 Depth=1
	flat_store_dword v[52:53], v37 sc0 sc1
.LBB4_217:                              ;   in Loop: Header=BB4_49 Depth=1
	s_or_b64 exec, exec, s[18:19]
	v_and_b32_e32 v0, 48, v62
	v_cmp_ne_u32_e32 vcc, 0, v0
	s_and_saveexec_b64 s[18:19], vcc
	s_cbranch_execz .LBB4_47
; %bb.218:                              ;   in Loop: Header=BB4_49 Depth=1
	v_lshl_add_u64 v[34:35], v[34:35], 0, 1
	flat_store_dwordx2 v[28:29], v[34:35] sc0 sc1
	s_branch .LBB4_47
.LBB4_219:
	s_or_b64 exec, exec, s[28:29]
.LBB4_220:
	s_or_b64 exec, exec, s[24:25]
                                        ; implicit-def: $vgpr58_vgpr59
                                        ; implicit-def: $vgpr24_vgpr25
                                        ; implicit-def: $vgpr36
                                        ; implicit-def: $vgpr50_vgpr51
                                        ; implicit-def: $vgpr48_vgpr49
                                        ; implicit-def: $vgpr28_vgpr29
                                        ; implicit-def: $vgpr61
                                        ; implicit-def: $vgpr0
                                        ; implicit-def: $vgpr18_vgpr19
.LBB4_221:
	s_andn2_saveexec_b64 s[16:17], s[22:23]
	s_cbranch_execz .LBB4_390
; %bb.222:
	v_mov_b64_e32 v[16:17], 0
	s_and_saveexec_b64 s[18:19], s[2:3]
	s_cbranch_execz .LBB4_389
; %bb.223:
	s_waitcnt vmcnt(0)
	v_accvgpr_read_b32 v1, a2
	v_cmp_ne_u32_sdwa s[22:23], v1, v22 src0_sel:WORD_0 src1_sel:DWORD
	v_accvgpr_read_b32 v1, a1
	v_and_b32_e32 v1, 63, v1
	v_cmp_eq_u32_e64 s[6:7], 0, v1
	v_ashrrev_i32_e32 v1, 31, v61
	v_lshrrev_b32_e32 v1, 26, v1
	v_add_u32_e32 v1, v61, v1
	v_ashrrev_i32_e32 v20, 6, v1
	v_and_b32_e32 v1, 0xffffffc0, v1
	v_sub_u32_e32 v1, v61, v1
	v_cmp_le_i32_e64 s[10:11], v1, v0
	v_lshlrev_b32_e32 v0, 11, v20
	v_lshl_add_u32 v0, v1, 4, v0
	v_cmp_gt_i32_e64 s[12:13], 1, v1
	v_accvgpr_write_b32 a32, v1
	v_ashrrev_i32_e32 v1, 31, v0
	v_accvgpr_write_b32 a35, v1
	v_lshrrev_b32_e32 v46, 6, v22
	v_accvgpr_write_b32 a34, v0
	v_mov_b32_e32 v0, 0xfffff800
	v_lshl_add_u32 v0, v46, 11, v0
	v_ashrrev_i32_e32 v1, 31, v0
	s_mov_b64 s[14:15], 0x800
	v_lshlrev_b32_e32 v21, 10, v46
	v_lshl_add_u64 v[2:3], v[0:1], 0, s[14:15]
	v_add_u32_e32 v0, 0xfffffc00, v21
	s_ashr_i32 s2, s60, 31
	v_ashrrev_i32_e32 v1, 31, v0
	s_mov_b64 s[14:15], 0x400
	v_and_b32_e32 v30, 0xffffffc0, v22
	s_lshr_b32 s2, s2, 24
	v_lshl_add_u64 v[12:13], v[0:1], 0, s[14:15]
	v_ashrrev_i32_e32 v31, 31, v30
	s_add_i32 s2, s60, s2
	v_cmp_eq_u32_e32 vcc, 64, v22
	v_mov_b32_e32 v15, 0
	s_waitcnt lgkmcnt(0)
	v_mov_b64_e32 v[52:53], 0
	v_accvgpr_write_b32 a6, v24
	v_accvgpr_write_b32 a8, v58
	;; [unrolled: 1-line block ×8, first 2 shown]
	s_ashr_i32 s56, s2, 8
	v_cmp_ge_i32_e64 s[2:3], v61, v22
	v_cmp_ne_u32_e64 s[4:5], 64, v22
	v_mov_b32_e32 v47, v15
	s_mov_b64 s[24:25], 0
	s_movk_i32 s57, 0x270e
	s_xor_b64 s[26:27], vcc, -1
	s_mov_b32 s58, 0x7f800000
	s_mov_b32 s59, 0x47600000
	;; [unrolled: 1-line block ×3, first 2 shown]
	s_mov_b64 s[28:29], 0x3c0
	s_movk_i32 s62, 0xfc40
	s_movk_i32 s63, 0xfc80
	;; [unrolled: 1-line block ×11, first 2 shown]
	v_mov_b32_e32 v60, 0xc7600000
	v_mov_b64_e32 v[16:17], v[52:53]
	v_accvgpr_write_b32 a3, v61
	v_accvgpr_write_b32 a7, v25
	;; [unrolled: 1-line block ×12, first 2 shown]
	s_trap 2
	s_branch .LBB4_226
.LBB4_224:                              ;   in Loop: Header=BB4_226 Depth=1
	s_or_b64 exec, exec, s[14:15]
.LBB4_225:                              ;   in Loop: Header=BB4_226 Depth=1
	s_or_b64 exec, exec, s[34:35]
	v_lshl_add_u64 v[52:53], v[52:53], 0, v[18:19]
	v_cmp_ge_u64_e32 vcc, v[52:53], v[24:25]
	s_or_b64 s[24:25], vcc, s[24:25]
	s_andn2_b64 exec, exec, s[24:25]
	s_cbranch_execz .LBB4_388
.LBB4_226:                              ; =>This Loop Header: Depth=1
                                        ;     Child Loop BB4_237 Depth 2
                                        ;     Child Loop BB4_259 Depth 2
	;; [unrolled: 1-line block ×10, first 2 shown]
	v_sub_co_u32_e32 v0, vcc, v24, v52
	v_mov_b32_e32 v6, 0
	s_nop 0
	v_subb_co_u32_e32 v1, vcc, v25, v53, vcc
	v_cmp_lt_u64_e32 vcc, v[18:19], v[0:1]
	s_nop 1
	v_cndmask_b32_e64 v55, v1, 0, vcc
	v_cndmask_b32_e32 v54, v0, v18, vcc
	v_add_u32_e32 v0, 15, v54
	v_cmp_eq_u64_e32 vcc, 0, v[54:55]
	v_and_b32_e32 v0, 0x7ffffff0, v0
	s_or_b64 s[30:31], s[2:3], vcc
	v_max_i32_e32 v23, s56, v0
	s_xor_b64 s[14:15], s[30:31], -1
	s_and_saveexec_b64 s[34:35], s[14:15]
	s_cbranch_execz .LBB4_342
; %bb.227:                              ;   in Loop: Header=BB4_226 Depth=1
	s_and_saveexec_b64 s[14:15], s[0:1]
	s_cbranch_execz .LBB4_229
; %bb.228:                              ;   in Loop: Header=BB4_226 Depth=1
	s_trap 2
	ds_read2_b64 v[0:3], v0 offset1:1
	v_lshl_add_u64 v[4:5], v[52:53], 0, v[58:59]
	s_waitcnt lgkmcnt(0)
	ds_read_b64 v[6:7], v0
	v_lshl_add_u64 v[0:1], v[0:1], 0, v[4:5]
	v_lshl_add_u64 v[2:3], v[2:3], 0, v[4:5]
	ds_write_b64 v0, v[0:1]
	ds_write_b64 v0, v[2:3]
	s_waitcnt lgkmcnt(0)
	v_lshl_add_u64 v[0:1], v[6:7], 0, v[4:5]
	v_cmp_ne_u64_e32 vcc, 0, v[6:7]
	s_nop 1
	v_cndmask_b32_e32 v1, 0, v1, vcc
	v_cndmask_b32_e32 v0, 0, v0, vcc
	ds_write_b64 v0, v[0:1]
.LBB4_229:                              ;   in Loop: Header=BB4_226 Depth=1
	s_or_b64 exec, exec, s[14:15]
	v_and_b32_e32 v0, 4, v62
	v_cmp_ne_u32_e32 vcc, 0, v0
	s_mov_b64 s[36:37], -1
	v_lshl_add_u64 v[2:3], v[34:35], 0, 1
	s_and_saveexec_b64 s[14:15], vcc
	s_cbranch_execnz .LBB4_232
; %bb.230:                              ;   in Loop: Header=BB4_226 Depth=1
	s_or_b64 exec, exec, s[14:15]
	s_xor_b64 s[14:15], s[36:37], -1
	s_and_saveexec_b64 s[36:37], s[14:15]
	s_cbranch_execnz .LBB4_243
.LBB4_231:                              ;   in Loop: Header=BB4_226 Depth=1
	s_or_b64 exec, exec, s[36:37]
	s_and_saveexec_b64 s[14:15], s[4:5]
	s_cbranch_execnz .LBB4_252
	s_branch .LBB4_270
.LBB4_232:                              ;   in Loop: Header=BB4_226 Depth=1
	v_lshl_add_u64 v[0:1], v[34:35], 0, 1
	v_cmp_lt_u64_e32 vcc, v[50:51], v[0:1]
	v_mov_b32_e32 v4, 1
	s_and_saveexec_b64 s[36:37], vcc
	s_cbranch_execz .LBB4_242
; %bb.233:                              ;   in Loop: Header=BB4_226 Depth=1
	s_mov_b64 s[38:39], 0
	v_mov_b32_e32 v4, 0
                                        ; implicit-def: $sgpr40_sgpr41
	s_branch .LBB4_237
.LBB4_234:                              ;   in Loop: Header=BB4_237 Depth=2
	s_or_b64 exec, exec, s[50:51]
	v_mov_b32_e32 v5, 0
	s_orn2_b64 s[48:49], s[48:49], exec
.LBB4_235:                              ;   in Loop: Header=BB4_237 Depth=2
	s_or_b64 exec, exec, s[46:47]
	s_andn2_b64 vcc, s[40:41], exec
	s_and_b64 s[40:41], s[48:49], exec
	s_or_b64 s[40:41], vcc, s[40:41]
	v_mov_b32_e32 v4, v5
.LBB4_236:                              ;   in Loop: Header=BB4_237 Depth=2
	s_or_b64 exec, exec, s[42:43]
	s_waitcnt vmcnt(0) lgkmcnt(0)
	v_cmp_ge_u64_e32 vcc, v[50:51], v[0:1]
	s_xor_b64 s[42:43], s[40:41], -1
	s_or_b64 vcc, s[42:43], vcc
	s_and_b64 vcc, exec, vcc
	s_or_b64 s[38:39], vcc, s[38:39]
	s_andn2_b64 exec, exec, s[38:39]
	s_cbranch_execz .LBB4_241
.LBB4_237:                              ;   Parent Loop BB4_226 Depth=1
                                        ; =>  This Inner Loop Header: Depth=2
	s_sleep 1
	flat_load_dwordx2 v[50:51], v[28:29] sc0 sc1
	v_and_b32_e32 v5, 64, v62
	v_cmp_eq_u32_e32 vcc, 0, v5
	s_andn2_b64 s[40:41], s[40:41], exec
	s_and_saveexec_b64 s[42:43], vcc
	s_cbranch_execz .LBB4_236
; %bb.238:                              ;   in Loop: Header=BB4_237 Depth=2
	v_add_u32_e32 v5, 1, v4
	v_cmp_lt_i32_e32 vcc, s57, v4
	s_mov_b64 s[48:49], -1
	s_and_saveexec_b64 s[46:47], vcc
	s_cbranch_execz .LBB4_235
; %bb.239:                              ;   in Loop: Header=BB4_237 Depth=2
	s_trap 2
	ds_read_b64 v[4:5], v0
	s_waitcnt vmcnt(0) lgkmcnt(0)
	flat_load_dword v4, v[4:5] sc0 sc1
	s_waitcnt vmcnt(0) lgkmcnt(0)
	buffer_inv sc0 sc1
	v_cmp_ne_u32_e32 vcc, 0, v4
	s_and_saveexec_b64 s[50:51], vcc
	s_cbranch_execz .LBB4_234
; %bb.240:                              ;   in Loop: Header=BB4_237 Depth=2
	v_or_b32_e32 v62, 64, v62
	s_xor_b64 s[48:49], exec, -1
	ds_write_b32 v0, v4
	s_trap 2
	s_branch .LBB4_234
.LBB4_241:                              ;   in Loop: Header=BB4_226 Depth=1
	s_or_b64 exec, exec, s[38:39]
	v_and_b32_e32 v4, 4, v62
.LBB4_242:                              ;   in Loop: Header=BB4_226 Depth=1
	s_or_b64 exec, exec, s[36:37]
	v_cmp_eq_u32_e32 vcc, 0, v4
	s_orn2_b64 s[36:37], vcc, exec
	;;#ASMSTART
	s_wakeup
	;;#ASMEND
	s_or_b64 exec, exec, s[14:15]
	s_xor_b64 s[14:15], s[36:37], -1
	s_and_saveexec_b64 s[36:37], s[14:15]
	s_cbranch_execz .LBB4_231
.LBB4_243:                              ;   in Loop: Header=BB4_226 Depth=1
	v_and_b32_e32 v0, 0x100, v62
	v_cmp_ne_u32_e32 vcc, 0, v0
	v_and_b32_e32 v4, 7, v34
	s_mov_b64 s[14:15], -1
                                        ; implicit-def: $vgpr0_vgpr1
	s_and_saveexec_b64 s[38:39], vcc
	s_cbranch_execz .LBB4_247
; %bb.244:                              ;   in Loop: Header=BB4_226 Depth=1
	v_mad_u64_u32 v[8:9], s[14:15], v4, 24, v[32:33]
	flat_load_dword v0, v[8:9]
	s_waitcnt vmcnt(0) lgkmcnt(0)
	v_cmp_ne_u32_e32 vcc, 1, v0
	v_cmp_eq_u32_e64 s[14:15], 1, v0
                                        ; implicit-def: $vgpr0_vgpr1
	s_and_saveexec_b64 s[40:41], s[14:15]
	s_cbranch_execz .LBB4_246
; %bb.245:                              ;   in Loop: Header=BB4_226 Depth=1
	flat_load_dword v0, v[8:9] offset:4 sc0 sc1
	s_waitcnt vmcnt(0) lgkmcnt(0)
	v_ashrrev_i32_e32 v1, 31, v0
.LBB4_246:                              ;   in Loop: Header=BB4_226 Depth=1
	s_or_b64 exec, exec, s[40:41]
	s_orn2_b64 s[14:15], vcc, exec
.LBB4_247:                              ;   in Loop: Header=BB4_226 Depth=1
	s_or_b64 exec, exec, s[38:39]
	s_and_saveexec_b64 vcc, s[14:15]
; %bb.248:                              ;   in Loop: Header=BB4_226 Depth=1
	v_mad_i64_i32 v[0:1], s[14:15], v4, v36, 0
; %bb.249:                              ;   in Loop: Header=BB4_226 Depth=1
	s_or_b64 exec, exec, vcc
	v_lshl_add_u64 v[0:1], v[48:49], 0, v[0:1]
	ds_write_b64 v0, v[0:1] offset:728
	v_and_b32_e32 v0, 0x2000, v62
	v_cmp_ne_u32_e32 vcc, 0, v0
	s_and_saveexec_b64 s[14:15], vcc
	s_cbranch_execz .LBB4_251
; %bb.250:                              ;   in Loop: Header=BB4_226 Depth=1
	ds_read_b64 v[0:1], v0 offset:584
	s_waitcnt lgkmcnt(0)
	v_lshl_add_u64 v[0:1], v[0:1], 0, 1
	ds_write_b64 v0, v[0:1] offset:584
.LBB4_251:                              ;   in Loop: Header=BB4_226 Depth=1
	s_or_b64 exec, exec, s[14:15]
	v_mov_b64_e32 v[34:35], v[2:3]
	s_or_b64 exec, exec, s[36:37]
	s_and_saveexec_b64 s[14:15], s[4:5]
	s_cbranch_execz .LBB4_270
.LBB4_252:                              ;   in Loop: Header=BB4_226 Depth=1
	s_and_saveexec_b64 vcc, s[22:23]
	s_xor_b64 s[36:37], exec, vcc
	s_cbranch_execz .LBB4_267
; %bb.253:                              ;   in Loop: Header=BB4_226 Depth=1
	s_and_saveexec_b64 s[38:39], s[6:7]
	s_cbranch_execz .LBB4_266
; %bb.254:                              ;   in Loop: Header=BB4_226 Depth=1
	s_mov_b64 s[42:43], exec
	v_mbcnt_lo_u32_b32 v0, s42, 0
	v_mbcnt_hi_u32_b32 v0, s43, v0
	v_cmp_eq_u32_e32 vcc, 0, v0
	s_waitcnt lgkmcnt(0)
	s_and_saveexec_b64 s[40:41], vcc
	s_cbranch_execz .LBB4_256
; %bb.255:                              ;   in Loop: Header=BB4_226 Depth=1
	s_bcnt1_i32_b64 vcc_lo, s[42:43]
	v_mov_b32_e32 v14, vcc_lo
	ds_add_u64 v0, v[14:15]
	s_trap 2
.LBB4_256:                              ;   in Loop: Header=BB4_226 Depth=1
	s_or_b64 exec, exec, s[40:41]
	s_trap 2
	ds_read_b64 v[0:1], v0
	v_lshl_add_u64 v[16:17], v[16:17], 0, v[46:47]
	s_waitcnt lgkmcnt(0)
	v_cmp_lt_u64_e32 vcc, v[0:1], v[16:17]
	s_and_saveexec_b64 s[40:41], vcc
	s_cbranch_execz .LBB4_265
; %bb.257:                              ;   in Loop: Header=BB4_226 Depth=1
	s_mov_b32 s54, 0
	s_mov_b64 s[42:43], 0
                                        ; implicit-def: $sgpr46_sgpr47
                                        ; implicit-def: $sgpr48_sgpr49
	s_branch .LBB4_259
.LBB4_258:                              ;   in Loop: Header=BB4_259 Depth=2
	s_or_b64 exec, exec, s[52:53]
	s_and_b64 vcc, exec, vcc
	s_or_b64 s[42:43], vcc, s[42:43]
	s_andn2_b64 vcc, s[46:47], exec
	s_and_b64 s[46:47], s[48:49], exec
	s_or_b64 s[46:47], vcc, s[46:47]
	s_andn2_b64 exec, exec, s[42:43]
	s_cbranch_execz .LBB4_263
.LBB4_259:                              ;   Parent Loop BB4_226 Depth=1
                                        ; =>  This Inner Loop Header: Depth=2
	s_add_i32 s54, s54, 1
	s_cmpk_lg_i32 s54, 0x2710
	s_cselect_b64 s[50:51], -1, 0
	s_and_b64 vcc, exec, s[50:51]
                                        ; implicit-def: $sgpr52_sgpr53
	s_cbranch_vccnz .LBB4_261
; %bb.260:                              ;   in Loop: Header=BB4_259 Depth=2
	s_trap 2
	ds_read_b64 v[0:1], v0
	s_andn2_b64 s[50:51], s[50:51], exec
	s_mov_b32 s54, 0
	s_mov_b64 s[52:53], -1
	s_waitcnt lgkmcnt(0)
	flat_load_dword v0, v[0:1] sc0 sc1
	s_waitcnt vmcnt(0) lgkmcnt(0)
	buffer_inv sc0 sc1
	v_cmp_eq_u32_e32 vcc, 0, v0
	s_and_b64 vcc, vcc, exec
	s_or_b64 s[50:51], s[50:51], vcc
.LBB4_261:                              ;   in Loop: Header=BB4_259 Depth=2
	s_andn2_b64 s[48:49], s[48:49], exec
	s_and_b64 s[52:53], s[52:53], exec
	s_mov_b64 vcc, -1
	s_or_b64 s[48:49], s[48:49], s[52:53]
	s_and_saveexec_b64 s[52:53], s[50:51]
	s_cbranch_execz .LBB4_258
; %bb.262:                              ;   in Loop: Header=BB4_259 Depth=2
	s_sleep 1
	s_trap 2
	ds_read_b64 v[0:1], v0
	s_andn2_b64 s[48:49], s[48:49], exec
	s_waitcnt lgkmcnt(0)
	v_cmp_ge_u64_e32 vcc, v[0:1], v[16:17]
	s_orn2_b64 vcc, vcc, exec
	s_branch .LBB4_258
.LBB4_263:                              ;   in Loop: Header=BB4_226 Depth=1
	s_or_b64 exec, exec, s[42:43]
	s_and_saveexec_b64 vcc, s[46:47]
	s_xor_b64 vcc, exec, vcc
	s_cbranch_execz .LBB4_265
; %bb.264:                              ;   in Loop: Header=BB4_226 Depth=1
	v_mov_b32_e32 v0, 1
	ds_write_b32 v0, v0
	s_trap 2
.LBB4_265:                              ;   in Loop: Header=BB4_226 Depth=1
	s_or_b64 exec, exec, s[40:41]
	;;#ASMSTART
	s_wakeup
	;;#ASMEND
.LBB4_266:                              ;   in Loop: Header=BB4_226 Depth=1
	s_or_b64 exec, exec, s[38:39]
.LBB4_267:                              ;   in Loop: Header=BB4_226 Depth=1
	s_andn2_saveexec_b64 vcc, s[36:37]
	s_cbranch_execz .LBB4_269
; %bb.268:                              ;   in Loop: Header=BB4_226 Depth=1
	s_waitcnt lgkmcnt(0)
	s_barrier
.LBB4_269:                              ;   in Loop: Header=BB4_226 Depth=1
	s_or_b64 exec, exec, vcc
.LBB4_270:                              ;   in Loop: Header=BB4_226 Depth=1
	s_or_b64 exec, exec, s[14:15]
	s_trap 2
	ds_read_b32 v0, v0
	v_and_b32_e32 v1, 0x4000, v62
	v_cmp_ne_u32_e32 vcc, 0, v1
	s_and_b64 vcc, s[26:27], vcc
	s_and_saveexec_b64 s[14:15], vcc
	s_cbranch_execz .LBB4_289
; %bb.271:                              ;   in Loop: Header=BB4_226 Depth=1
	s_and_saveexec_b64 vcc, s[22:23]
	s_xor_b64 s[36:37], exec, vcc
	s_cbranch_execz .LBB4_286
; %bb.272:                              ;   in Loop: Header=BB4_226 Depth=1
	s_and_saveexec_b64 s[38:39], s[6:7]
	s_cbranch_execz .LBB4_285
; %bb.273:                              ;   in Loop: Header=BB4_226 Depth=1
	s_mov_b64 s[42:43], exec
	v_mbcnt_lo_u32_b32 v1, s42, 0
	v_mbcnt_hi_u32_b32 v1, s43, v1
	v_cmp_eq_u32_e32 vcc, 0, v1
	s_waitcnt lgkmcnt(0)
	s_and_saveexec_b64 s[40:41], vcc
	s_cbranch_execz .LBB4_275
; %bb.274:                              ;   in Loop: Header=BB4_226 Depth=1
	s_bcnt1_i32_b64 vcc_lo, s[42:43]
	v_mov_b32_e32 v14, vcc_lo
	ds_add_u64 v0, v[14:15]
	s_trap 2
.LBB4_275:                              ;   in Loop: Header=BB4_226 Depth=1
	s_or_b64 exec, exec, s[40:41]
	s_trap 2
	ds_read_b64 v[2:3], v0
	v_lshl_add_u64 v[16:17], v[16:17], 0, v[46:47]
	s_waitcnt lgkmcnt(0)
	v_cmp_lt_u64_e32 vcc, v[2:3], v[16:17]
	s_and_saveexec_b64 s[40:41], vcc
	s_cbranch_execz .LBB4_284
; %bb.276:                              ;   in Loop: Header=BB4_226 Depth=1
	s_mov_b32 s54, 0
	s_mov_b64 s[42:43], 0
                                        ; implicit-def: $sgpr46_sgpr47
                                        ; implicit-def: $sgpr48_sgpr49
	s_branch .LBB4_278
.LBB4_277:                              ;   in Loop: Header=BB4_278 Depth=2
	s_or_b64 exec, exec, s[52:53]
	s_and_b64 vcc, exec, vcc
	s_or_b64 s[42:43], vcc, s[42:43]
	s_andn2_b64 vcc, s[46:47], exec
	s_and_b64 s[46:47], s[48:49], exec
	s_or_b64 s[46:47], vcc, s[46:47]
	s_andn2_b64 exec, exec, s[42:43]
	s_cbranch_execz .LBB4_282
.LBB4_278:                              ;   Parent Loop BB4_226 Depth=1
                                        ; =>  This Inner Loop Header: Depth=2
	s_add_i32 s54, s54, 1
	s_cmpk_lg_i32 s54, 0x2710
	s_cselect_b64 s[50:51], -1, 0
	s_and_b64 vcc, exec, s[50:51]
                                        ; implicit-def: $sgpr52_sgpr53
	s_cbranch_vccnz .LBB4_280
; %bb.279:                              ;   in Loop: Header=BB4_278 Depth=2
	s_trap 2
	ds_read_b64 v[2:3], v0
	s_andn2_b64 s[50:51], s[50:51], exec
	s_mov_b32 s54, 0
	s_mov_b64 s[52:53], -1
	s_waitcnt lgkmcnt(0)
	flat_load_dword v1, v[2:3] sc0 sc1
	s_waitcnt vmcnt(0) lgkmcnt(0)
	buffer_inv sc0 sc1
	v_cmp_eq_u32_e32 vcc, 0, v1
	s_and_b64 vcc, vcc, exec
	s_or_b64 s[50:51], s[50:51], vcc
.LBB4_280:                              ;   in Loop: Header=BB4_278 Depth=2
	s_andn2_b64 s[48:49], s[48:49], exec
	s_and_b64 s[52:53], s[52:53], exec
	s_mov_b64 vcc, -1
	s_or_b64 s[48:49], s[48:49], s[52:53]
	s_and_saveexec_b64 s[52:53], s[50:51]
	s_cbranch_execz .LBB4_277
; %bb.281:                              ;   in Loop: Header=BB4_278 Depth=2
	s_sleep 1
	s_trap 2
	ds_read_b64 v[2:3], v0
	s_andn2_b64 s[48:49], s[48:49], exec
	s_waitcnt lgkmcnt(0)
	v_cmp_ge_u64_e32 vcc, v[2:3], v[16:17]
	s_orn2_b64 vcc, vcc, exec
	s_branch .LBB4_277
.LBB4_282:                              ;   in Loop: Header=BB4_226 Depth=1
	s_or_b64 exec, exec, s[42:43]
	s_and_saveexec_b64 vcc, s[46:47]
	s_xor_b64 vcc, exec, vcc
	s_cbranch_execz .LBB4_284
; %bb.283:                              ;   in Loop: Header=BB4_226 Depth=1
	v_mov_b32_e32 v1, 1
	ds_write_b32 v0, v1
	s_trap 2
.LBB4_284:                              ;   in Loop: Header=BB4_226 Depth=1
	s_or_b64 exec, exec, s[40:41]
	;;#ASMSTART
	s_wakeup
	;;#ASMEND
.LBB4_285:                              ;   in Loop: Header=BB4_226 Depth=1
	s_or_b64 exec, exec, s[38:39]
.LBB4_286:                              ;   in Loop: Header=BB4_226 Depth=1
	s_andn2_saveexec_b64 vcc, s[36:37]
	s_cbranch_execz .LBB4_288
; %bb.287:                              ;   in Loop: Header=BB4_226 Depth=1
	s_waitcnt lgkmcnt(0)
	s_barrier
.LBB4_288:                              ;   in Loop: Header=BB4_226 Depth=1
	s_or_b64 exec, exec, vcc
.LBB4_289:                              ;   in Loop: Header=BB4_226 Depth=1
	s_or_b64 exec, exec, s[14:15]
	s_trap 2
	s_waitcnt lgkmcnt(0)
	ds_read_b64 v[2:3], v0
	v_min_u32_e32 v23, v23, v54
	s_waitcnt lgkmcnt(0)
	v_readfirstlane_b32 s14, v2
	v_readfirstlane_b32 s15, v3
	s_cmp_eq_u64 s[14:15], 0
	s_cselect_b64 s[14:15], -1, 0
	s_or_b64 vcc, s[14:15], s[14:15]
	s_mov_b64 s[14:15], 0
	s_and_b64 vcc, exec, vcc
	s_cbranch_vccnz .LBB4_318
; %bb.290:                              ;   in Loop: Header=BB4_226 Depth=1
	s_mov_b64 s[36:37], -1
	s_and_saveexec_b64 s[14:15], s[10:11]
	s_cbranch_execz .LBB4_292
; %bb.291:                              ;   in Loop: Header=BB4_226 Depth=1
	ds_read_b32 v1, v0 offset:720
	s_waitcnt lgkmcnt(0)
	v_and_b32_e32 v1, 15, v1
	v_cmp_eq_u32_e32 vcc, 0, v1
	s_orn2_b64 s[36:37], vcc, exec
.LBB4_292:                              ;   in Loop: Header=BB4_226 Depth=1
	s_or_b64 exec, exec, s[14:15]
	s_and_saveexec_b64 s[14:15], s[12:13]
	s_cbranch_execz .LBB4_294
; %bb.293:                              ;   in Loop: Header=BB4_226 Depth=1
	ds_read_b32 v1, v0 offset:784
	s_waitcnt lgkmcnt(0)
	v_and_b32_e32 v1, 15, v1
	v_cmp_eq_u32_e32 vcc, 0, v1
	s_and_b64 vcc, s[36:37], vcc
	s_andn2_b64 s[36:37], s[36:37], exec
	s_and_b64 vcc, vcc, exec
	s_or_b64 s[36:37], s[36:37], vcc
.LBB4_294:                              ;   in Loop: Header=BB4_226 Depth=1
	s_or_b64 exec, exec, s[14:15]
	v_cmp_eq_u32_e32 vcc, 0, v0
	v_mov_b32_e32 v37, 0
	s_mov_b64 s[14:15], -1
	v_cndmask_b32_e32 v14, 0, v23, vcc
	s_xor_b64 vcc, s[36:37], -1
	v_cndmask_b32_e64 v0, 0, 1, vcc
	;;#ASMSTART
	;;#ASMEND
	v_mov_b32_e32 v4, v14
	v_cmp_ne_u32_e32 vcc, 0, v0
	v_mov_b32_e32 v5, v61
	v_mov_b32_e32 v2, v20
	s_cbranch_vccz .LBB4_296
; %bb.295:                              ;   in Loop: Header=BB4_226 Depth=1
	s_and_saveexec_b64 s[36:37], s[14:15]
	s_cbranch_execnz .LBB4_309
	s_branch .LBB4_317
.LBB4_296:                              ;   in Loop: Header=BB4_226 Depth=1
	v_lshrrev_b32_e32 v0, 11, v14
	v_sub_u32_e32 v38, v0, v20
	v_cmp_lt_i32_e32 vcc, 0, v38
	s_and_saveexec_b64 s[14:15], vcc
	s_cbranch_execz .LBB4_300
; %bb.297:                              ;   in Loop: Header=BB4_226 Depth=1
	s_trap 2
	ds_read_b128 v[2:5], v0
	ds_read_b64 v[0:1], v0
	v_accvgpr_read_b32 v6, a34
	v_accvgpr_write_b32 a42, v52
	v_accvgpr_write_b32 a27, v17
	;; [unrolled: 1-line block ×4, first 2 shown]
	v_accvgpr_read_b32 v7, a35
	v_accvgpr_write_b32 a46, v14
	v_accvgpr_write_b32 a45, v23
	;; [unrolled: 1-line block ×11, first 2 shown]
	s_waitcnt lgkmcnt(0)
	v_lshl_add_u64 v[2:3], v[2:3], 0, v[6:7]
	v_lshl_add_u64 v[58:59], v[4:5], 0, v[6:7]
	v_mov_b32_e32 v39, 0xc7600000
	s_waitcnt lgkmcnt(0)
	v_lshl_add_u64 v[60:61], v[0:1], 0, v[6:7]
	s_mov_b64 s[36:37], 0
.LBB4_298:                              ;   Parent Loop BB4_226 Depth=1
                                        ; =>  This Inner Loop Header: Depth=2
	s_trap 2
	global_load_dwordx4 v[10:13], v[2:3], off nt
	global_load_dwordx4 v[14:17], v[2:3], off offset:1024 nt
	global_load_dwordx4 v[22:25], v[58:59], off nt
	global_load_dwordx4 v[18:21], v[58:59], off offset:1024 nt
	v_accvgpr_write_b32 a30, v46
	v_accvgpr_write_b32 a31, v47
	s_waitcnt vmcnt(0)
	v_and_b32_e32 v0, 0xff, v10
	v_and_b32_e32 v36, 0xff, v11
	v_bfe_u32 v37, v11, 8, 8
	v_lshrrev_b32_e32 v43, 24, v11
	v_bfe_u32 v46, v11, 16, 8
	s_waitcnt vmcnt(0)
	v_lshrrev_b32_e32 v11, 16, v21
	v_accvgpr_write_b32 a49, v11
	ds_read_b32 v11, v0
	v_bfe_u32 v1, v10, 8, 8
	v_cvt_f32_bf8_sdwa v0, v0 src0_sel:BYTE_0
	v_cvt_f32_bf8_sdwa v1, v1 src0_sel:BYTE_0
	v_lshrrev_b32_e32 v47, 24, v10
	s_waitcnt lgkmcnt(0)
	v_and_b32_e32 v11, 0xff, v11
	v_cvt_f32_bf8_sdwa v48, v11 src0_sel:BYTE_0
	v_bfe_u32 v62, v10, 16, 8
	v_and_b32_e32 v10, 0xffff, v22
	v_and_b32_e32 v56, 0xff, v13
	v_mul_f32_e32 v0, v48, v0
	v_med3_f32 v11, v0, s59, v39
	v_cmp_nlg_f32_e64 vcc, |v0|, s58
	v_mul_f32_e32 v1, v48, v1
	v_bfe_u32 v57, v13, 8, 8
	v_cndmask_b32_e32 v0, v11, v0, vcc
	v_med3_f32 v11, v1, s59, v39
	v_cmp_nlg_f32_e64 vcc, |v1|, s58
	v_lshrrev_b32_e32 v55, 24, v13
	v_bfe_u32 v44, v13, 16, 8
	v_cndmask_b32_e32 v1, v11, v1, vcc
	v_mov_b32_e32 v11, 0
	v_cvt_pk_bf8_f32 v11, v1, v1
	v_mov_b32_e32 v1, 0
	v_cvt_pk_bf8_f32 v1, v0, v0
	v_and_b32_e32 v51, 0xff, v12
	v_lshlrev_b32_e32 v0, 8, v11
	v_bfe_u32 v42, v12, 8, 8
	v_perm_b32 v11, v0, v1, s61
	v_cvt_pk_f32_bf8_e32 v[0:1], v10
	v_cvt_pk_f32_bf8_e32 v[10:11], v11
	;;#ASMSTART
	v_pk_add_f32 v[10:11], v[10:11], v[0:1]
	;;#ASMEND
	v_cvt_f32_bf8_sdwa v0, v62 src0_sel:BYTE_0
	v_lshrrev_b32_e32 v40, 24, v12
	v_bfe_u32 v41, v12, 16, 8
	v_lshrrev_b32_e32 v12, 16, v22
	v_mul_f32_e32 v0, v48, v0
	v_med3_f32 v1, v0, s59, v39
	v_cmp_nlg_f32_e64 vcc, |v0|, s58
	v_and_b32_e32 v26, 0xff, v15
	v_bfe_u32 v27, v15, 8, 8
	v_cndmask_b32_e32 v0, v1, v0, vcc
	v_cvt_f32_bf8_sdwa v1, v47 src0_sel:BYTE_0
	v_lshrrev_b32_e32 v34, 24, v15
	v_bfe_u32 v35, v15, 16, 8
	v_lshrrev_b32_e32 v4, 24, v17
	v_mul_f32_e32 v1, v48, v1
	v_med3_f32 v13, v1, s59, v39
	v_cmp_nlg_f32_e64 vcc, |v1|, s58
	v_and_b32_e32 v8, 0xff, v17
	v_bfe_u32 v9, v17, 8, 8
	v_cndmask_b32_e32 v1, v13, v1, vcc
	v_mov_b32_e32 v13, 0
	v_cvt_pk_bf8_f32 v13, v1, v1
	v_mov_b32_e32 v1, 0
	v_cvt_pk_bf8_f32 v1, v0, v0
	v_accvgpr_write_b32 a47, v4
	v_lshlrev_b32_e32 v0, 8, v13
	v_bfe_u32 v4, v17, 16, 8
	v_perm_b32 v13, v0, v1, s61
	v_cvt_pk_f32_bf8_e32 v[0:1], v12
	v_cvt_pk_f32_bf8_e32 v[12:13], v13
	;;#ASMSTART
	v_pk_add_f32 v[12:13], v[12:13], v[0:1]
	;;#ASMEND
	v_cvt_f32_bf8_sdwa v0, v36 src0_sel:BYTE_0
	v_cvt_f32_bf8_sdwa v1, v37 src0_sel:BYTE_0
	v_mov_b32_e32 v17, 0
	v_and_b32_e32 v30, 0xff, v14
	v_mul_f32_e32 v0, v48, v0
	v_mul_f32_e32 v1, v48, v1
	v_med3_f32 v15, v0, s59, v39
	v_cmp_nlg_f32_e64 vcc, |v0|, s58
	v_bfe_u32 v31, v14, 8, 8
	v_lshrrev_b32_e32 v28, 24, v14
	v_cndmask_b32_e32 v0, v15, v0, vcc
	v_med3_f32 v15, v1, s59, v39
	v_cmp_nlg_f32_e64 vcc, |v1|, s58
	v_cvt_pk_bf8_f32 v17, v0, v0
	v_bfe_u32 v29, v14, 16, 8
	v_cndmask_b32_e32 v1, v15, v1, vcc
	v_mov_b32_e32 v15, 0
	v_cvt_pk_bf8_f32 v15, v1, v1
	v_and_b32_e32 v14, 0xffff, v23
	v_cvt_pk_f32_bf8_e32 v[0:1], v14
	v_lshrrev_b32_e32 v5, 16, v18
	v_lshlrev_b32_e32 v14, 8, v15
	v_perm_b32 v14, v14, v17, s61
	v_cvt_pk_f32_bf8_e32 v[14:15], v14
	;;#ASMSTART
	v_pk_add_f32 v[14:15], v[14:15], v[0:1]
	;;#ASMEND
	v_cvt_f32_bf8_sdwa v0, v46 src0_sel:BYTE_0
	v_cvt_f32_bf8_sdwa v1, v43 src0_sel:BYTE_0
	v_and_b32_e32 v50, 0xffff, v18
	v_mov_b32_e32 v17, 0
	v_mul_f32_e32 v0, v48, v0
	v_mul_f32_e32 v1, v48, v1
	v_med3_f32 v18, v0, s59, v39
	v_cmp_nlg_f32_e64 vcc, |v0|, s58
	v_and_b32_e32 v6, 0xff, v16
	v_bfe_u32 v7, v16, 8, 8
	v_cndmask_b32_e32 v0, v18, v0, vcc
	v_med3_f32 v18, v1, s59, v39
	v_cmp_nlg_f32_e64 vcc, |v1|, s58
	v_cvt_pk_bf8_f32 v17, v0, v0
	v_lshrrev_b32_e32 v32, 24, v16
	v_cndmask_b32_e32 v1, v18, v1, vcc
	v_mov_b32_e32 v18, 0
	v_cvt_pk_bf8_f32 v18, v1, v1
	v_bfe_u32 v33, v16, 16, 8
	v_lshrrev_b32_e32 v16, 16, v23
	v_cvt_pk_f32_bf8_e32 v[0:1], v16
	v_lshlrev_b32_e32 v16, 8, v18
	v_perm_b32 v16, v16, v17, s61
	v_cvt_pk_f32_bf8_e32 v[16:17], v16
	;;#ASMSTART
	v_pk_add_f32 v[16:17], v[16:17], v[0:1]
	;;#ASMEND
	v_cvt_f32_bf8_sdwa v0, v51 src0_sel:BYTE_0
	v_cvt_f32_bf8_sdwa v1, v42 src0_sel:BYTE_0
	v_lshrrev_b32_e32 v52, 16, v20
	v_and_b32_e32 v53, 0xffff, v20
	v_mul_f32_e32 v0, v48, v0
	v_mul_f32_e32 v1, v48, v1
	v_med3_f32 v20, v0, s59, v39
	v_cmp_nlg_f32_e64 vcc, |v0|, s58
	v_mov_b32_e32 v18, 0
	v_lshrrev_b32_e32 v54, 16, v19
	v_cndmask_b32_e32 v0, v20, v0, vcc
	v_med3_f32 v20, v1, s59, v39
	v_cmp_nlg_f32_e64 vcc, |v1|, s58
	v_and_b32_e32 v45, 0xffff, v19
	v_mov_b32_e32 v19, 0
	v_cndmask_b32_e32 v1, v20, v1, vcc
	v_cvt_pk_bf8_f32 v18, v1, v1
	v_cvt_pk_bf8_f32 v19, v0, v0
	v_accvgpr_write_b32 a48, v4
	v_and_b32_e32 v4, 0xffff, v24
	v_cvt_pk_f32_bf8_e32 v[0:1], v4
	v_lshlrev_b32_e32 v4, 8, v18
	v_perm_b32 v4, v4, v19, s61
	v_cvt_pk_f32_bf8_e32 v[18:19], v4
	;;#ASMSTART
	v_pk_add_f32 v[18:19], v[18:19], v[0:1]
	;;#ASMEND
	v_cvt_f32_bf8_sdwa v0, v41 src0_sel:BYTE_0
	v_cvt_f32_bf8_sdwa v1, v40 src0_sel:BYTE_0
	v_lshrrev_b32_e32 v23, 16, v24
	v_lshrrev_b32_e32 v24, 16, v25
	v_mul_f32_e32 v0, v48, v0
	v_and_b32_e32 v22, 0xffff, v25
	v_mul_f32_e32 v1, v48, v1
	v_med3_f32 v25, v0, s59, v39
	v_cmp_nlg_f32_e64 vcc, |v0|, s58
	v_and_b32_e32 v49, 0xffff, v21
	v_mov_b32_e32 v21, 0
	v_cndmask_b32_e32 v0, v25, v0, vcc
	v_med3_f32 v25, v1, s59, v39
	v_cmp_nlg_f32_e64 vcc, |v1|, s58
	v_mov_b32_e32 v20, 0
	v_cvt_pk_bf8_f32 v20, v0, v0
	v_cndmask_b32_e32 v1, v25, v1, vcc
	v_cvt_pk_bf8_f32 v21, v1, v1
	v_cvt_pk_f32_bf8_e32 v[0:1], v23
	v_mov_b32_e32 v25, 0
	v_mov_b32_e32 v4, 0
	v_lshlrev_b32_e32 v21, 8, v21
	v_perm_b32 v20, v21, v20, s61
	v_cvt_pk_f32_bf8_e32 v[20:21], v20
	;;#ASMSTART
	v_pk_add_f32 v[20:21], v[20:21], v[0:1]
	;;#ASMEND
	v_cvt_f32_bf8_sdwa v0, v56 src0_sel:BYTE_0
	v_cvt_f32_bf8_sdwa v1, v57 src0_sel:BYTE_0
	v_mov_b32_e32 v37, 0
	v_mov_b32_e32 v36, 0
	v_mul_f32_e32 v0, v48, v0
	v_mul_f32_e32 v1, v48, v1
	v_med3_f32 v23, v0, s59, v39
	v_cmp_nlg_f32_e64 vcc, |v0|, s58
	v_mov_b32_e32 v40, 0
	v_mov_b32_e32 v51, 0
	v_cndmask_b32_e32 v0, v23, v0, vcc
	v_med3_f32 v23, v1, s59, v39
	v_cmp_nlg_f32_e64 vcc, |v1|, s58
	v_cvt_pk_bf8_f32 v4, v0, v0
	v_mov_b32_e32 v41, 0
	v_cndmask_b32_e32 v1, v23, v1, vcc
	v_cvt_pk_bf8_f32 v25, v1, v1
	v_cvt_pk_f32_bf8_e32 v[0:1], v22
	v_mov_b32_e32 v42, 0
	v_mov_b32_e32 v43, 0
	v_lshlrev_b32_e32 v22, 8, v25
	v_perm_b32 v4, v22, v4, s61
	v_cvt_pk_f32_bf8_e32 v[22:23], v4
	;;#ASMSTART
	v_pk_add_f32 v[22:23], v[22:23], v[0:1]
	;;#ASMEND
	v_cvt_f32_bf8_sdwa v0, v44 src0_sel:BYTE_0
	v_cvt_f32_bf8_sdwa v1, v55 src0_sel:BYTE_0
	v_mov_b32_e32 v55, 0
	v_mov_b32_e32 v4, 0
	v_mul_f32_e32 v0, v48, v0
	v_mul_f32_e32 v1, v48, v1
	v_med3_f32 v25, v0, s59, v39
	v_cmp_nlg_f32_e64 vcc, |v0|, s58
	v_mov_b32_e32 v44, 0
	v_accvgpr_read_b32 v47, a31
	v_cndmask_b32_e32 v0, v25, v0, vcc
	v_med3_f32 v25, v1, s59, v39
	v_cmp_nlg_f32_e64 vcc, |v1|, s58
	v_cvt_pk_bf8_f32 v36, v0, v0
	v_accvgpr_read_b32 v46, a30
	v_cndmask_b32_e32 v1, v25, v1, vcc
	v_cvt_pk_bf8_f32 v37, v1, v1
	v_cvt_pk_f32_bf8_e32 v[0:1], v24
	v_accvgpr_read_b32 v57, a37
	v_sub_u32_e32 v38, v38, v46
	v_lshlrev_b32_e32 v24, 8, v37
	v_perm_b32 v24, v24, v36, s61
	v_cvt_pk_f32_bf8_e32 v[24:25], v24
	;;#ASMSTART
	v_pk_add_f32 v[24:25], v[24:25], v[0:1]
	;;#ASMEND
	v_cvt_f32_bf8_sdwa v0, v30 src0_sel:BYTE_0
	v_cvt_f32_bf8_sdwa v1, v31 src0_sel:BYTE_0
	v_mov_b32_e32 v36, 0
	v_mov_b32_e32 v37, 0
	v_mul_f32_e32 v0, v48, v0
	v_mul_f32_e32 v1, v48, v1
	v_med3_f32 v30, v0, s59, v39
	v_cmp_nlg_f32_e64 vcc, |v0|, s58
	v_accvgpr_read_b32 v56, a36
	v_lshl_add_u64 v[2:3], v[2:3], 0, v[56:57]
	v_cndmask_b32_e32 v0, v30, v0, vcc
	v_med3_f32 v30, v1, s59, v39
	v_cmp_nlg_f32_e64 vcc, |v1|, s58
	v_cvt_pk_bf8_f32 v51, v0, v0
	v_lshl_add_u64 v[58:59], v[58:59], 0, v[56:57]
	v_cndmask_b32_e32 v1, v30, v1, vcc
	v_cvt_pk_bf8_f32 v40, v1, v1
	v_cvt_pk_f32_bf8_e32 v[0:1], v50
	v_mov_b32_e32 v50, 0
	v_lshlrev_b32_e32 v30, 8, v40
	v_perm_b32 v30, v30, v51, s61
	v_cvt_pk_f32_bf8_e32 v[30:31], v30
	;;#ASMSTART
	v_pk_add_f32 v[30:31], v[30:31], v[0:1]
	;;#ASMEND
	v_cvt_f32_bf8_sdwa v0, v29 src0_sel:BYTE_0
	v_cvt_f32_bf8_sdwa v1, v28 src0_sel:BYTE_0
	v_mov_b32_e32 v51, 0
	v_mov_b32_e32 v40, 0
	v_mul_f32_e32 v0, v48, v0
	v_mul_f32_e32 v1, v48, v1
	v_med3_f32 v28, v0, s59, v39
	v_cmp_nlg_f32_e64 vcc, |v0|, s58
	s_nop 1
	v_cndmask_b32_e32 v0, v28, v0, vcc
	v_med3_f32 v28, v1, s59, v39
	v_cmp_nlg_f32_e64 vcc, |v1|, s58
	v_cvt_pk_bf8_f32 v4, v0, v0
	s_nop 0
	v_cndmask_b32_e32 v1, v28, v1, vcc
	v_cvt_pk_bf8_f32 v55, v1, v1
	v_cvt_pk_f32_bf8_e32 v[0:1], v5
	v_lshlrev_b32_e32 v5, 8, v55
	v_perm_b32 v4, v5, v4, s61
	v_cvt_pk_f32_bf8_e32 v[4:5], v4
	;;#ASMSTART
	v_pk_add_f32 v[28:29], v[4:5], v[0:1]
	;;#ASMEND
	v_cvt_f32_bf8_sdwa v0, v26 src0_sel:BYTE_0
	v_cvt_f32_bf8_sdwa v1, v27 src0_sel:BYTE_0
	v_mov_b32_e32 v55, 0
	v_mul_f32_e32 v0, v48, v0
	v_mul_f32_e32 v1, v48, v1
	v_med3_f32 v4, v0, s59, v39
	v_cmp_nlg_f32_e64 vcc, |v0|, s58
	s_nop 1
	v_cndmask_b32_e32 v0, v4, v0, vcc
	v_med3_f32 v4, v1, s59, v39
	v_cmp_nlg_f32_e64 vcc, |v1|, s58
	v_cvt_pk_bf8_f32 v41, v0, v0
	s_nop 0
	v_cndmask_b32_e32 v1, v4, v1, vcc
	v_cvt_pk_bf8_f32 v36, v1, v1
	v_cvt_pk_f32_bf8_e32 v[0:1], v45
	v_mov_b32_e32 v45, 0
	v_cvt_pk_bf8_f32 v45, v28, v29
	v_lshlrev_b32_e32 v4, 8, v36
	v_perm_b32 v4, v4, v41, s61
	v_cvt_pk_f32_bf8_e32 v[4:5], v4
	;;#ASMSTART
	v_pk_add_f32 v[26:27], v[4:5], v[0:1]
	;;#ASMEND
	v_cvt_f32_bf8_sdwa v0, v35 src0_sel:BYTE_0
	v_cvt_f32_bf8_sdwa v1, v34 src0_sel:BYTE_0
	v_mov_b32_e32 v41, 0
	v_mov_b32_e32 v36, 0
	v_mul_f32_e32 v0, v48, v0
	v_mul_f32_e32 v1, v48, v1
	v_med3_f32 v4, v0, s59, v39
	v_cmp_nlg_f32_e64 vcc, |v0|, s58
	v_mov_b32_e32 v5, 0
	v_cvt_pk_bf8_f32 v5, v10, v11
	v_cndmask_b32_e32 v0, v4, v0, vcc
	v_med3_f32 v4, v1, s59, v39
	v_cmp_nlg_f32_e64 vcc, |v1|, s58
	v_cvt_pk_bf8_f32 v37, v0, v0
	s_nop 0
	v_cndmask_b32_e32 v1, v4, v1, vcc
	v_cvt_pk_bf8_f32 v42, v1, v1
	v_cvt_pk_f32_bf8_e32 v[0:1], v54
	v_mov_b32_e32 v54, 0
	v_cvt_pk_bf8_f32 v54, v16, v17
	v_lshlrev_b32_e32 v4, 8, v42
	v_perm_b32 v4, v4, v37, s61
	v_cvt_pk_f32_bf8_e32 v[34:35], v4
	;;#ASMSTART
	v_pk_add_f32 v[34:35], v[34:35], v[0:1]
	;;#ASMEND
	v_cvt_f32_bf8_sdwa v0, v6 src0_sel:BYTE_0
	v_cvt_f32_bf8_sdwa v1, v7 src0_sel:BYTE_0
	v_mov_b32_e32 v37, 0
	v_mov_b32_e32 v42, 0
	v_mul_f32_e32 v0, v48, v0
	v_mul_f32_e32 v1, v48, v1
	v_med3_f32 v6, v0, s59, v39
	v_cmp_nlg_f32_e64 vcc, |v0|, s58
	v_mov_b32_e32 v4, 0
	v_cvt_pk_bf8_f32 v37, v14, v15
	v_cndmask_b32_e32 v0, v6, v0, vcc
	v_med3_f32 v6, v1, s59, v39
	v_cmp_nlg_f32_e64 vcc, |v1|, s58
	v_cvt_pk_bf8_f32 v50, v0, v0
	v_cvt_pk_bf8_f32 v42, v22, v23
	v_cndmask_b32_e32 v1, v6, v1, vcc
	v_cvt_pk_bf8_f32 v51, v1, v1
	v_cvt_pk_f32_bf8_e32 v[0:1], v53
	v_cvt_pk_bf8_f32 v4, v12, v13
	v_lshlrev_b32_e32 v6, 8, v51
	v_perm_b32 v6, v6, v50, s61
	v_cvt_pk_f32_bf8_e32 v[6:7], v6
	;;#ASMSTART
	v_pk_add_f32 v[0:1], v[6:7], v[0:1]
	;;#ASMEND
	v_cvt_f32_bf8_sdwa v6, v33 src0_sel:BYTE_0
	v_cvt_f32_bf8_sdwa v7, v32 src0_sel:BYTE_0
	v_mov_b32_e32 v50, 0
	v_mov_b32_e32 v51, 0
	v_mul_f32_e32 v6, v48, v6
	v_mul_f32_e32 v7, v48, v7
	v_med3_f32 v32, v6, s59, v39
	v_cmp_nlg_f32_e64 vcc, |v6|, s58
	v_cvt_pk_bf8_f32 v50, v18, v19
	v_cvt_pk_bf8_f32 v51, v20, v21
	v_cndmask_b32_e32 v6, v32, v6, vcc
	v_med3_f32 v32, v7, s59, v39
	v_cmp_nlg_f32_e64 vcc, |v7|, s58
	v_cvt_pk_bf8_f32 v40, v6, v6
	s_nop 0
	v_cndmask_b32_e32 v7, v32, v7, vcc
	v_cvt_pk_bf8_f32 v55, v7, v7
	v_cvt_pk_f32_bf8_e32 v[6:7], v52
	v_lshlrev_b32_e32 v32, 8, v55
	v_perm_b32 v32, v32, v40, s61
	v_cvt_pk_f32_bf8_e32 v[32:33], v32
	;;#ASMSTART
	v_pk_add_f32 v[52:53], v[32:33], v[6:7]
	;;#ASMEND
	v_cvt_f32_bf8_sdwa v6, v8 src0_sel:BYTE_0
	v_cvt_f32_bf8_sdwa v7, v9 src0_sel:BYTE_0
	v_mov_b32_e32 v55, 0
	v_mov_b32_e32 v40, 0
	v_mul_f32_e32 v6, v48, v6
	v_mul_f32_e32 v7, v48, v7
	v_med3_f32 v8, v6, s59, v39
	v_cmp_nlg_f32_e64 vcc, |v6|, s58
	v_cvt_pk_bf8_f32 v55, v24, v25
	v_cvt_pk_bf8_f32 v40, v30, v31
	v_cndmask_b32_e32 v6, v8, v6, vcc
	v_med3_f32 v8, v7, s59, v39
	v_cmp_nlg_f32_e64 vcc, |v7|, s58
	v_cvt_pk_bf8_f32 v43, v6, v6
	s_nop 0
	v_cndmask_b32_e32 v7, v8, v7, vcc
	v_cvt_pk_bf8_f32 v44, v7, v7
	v_cvt_pk_f32_bf8_e32 v[6:7], v49
	v_mov_b32_e32 v49, 0
	v_cvt_pk_bf8_f32 v49, v26, v27
	v_lshlrev_b32_e32 v8, 8, v44
	v_perm_b32 v8, v8, v43, s61
	v_cvt_pk_f32_bf8_e32 v[8:9], v8
	;;#ASMSTART
	v_pk_add_f32 v[6:7], v[8:9], v[6:7]
	;;#ASMEND
	v_accvgpr_read_b32 v8, a48
	v_cvt_f32_bf8_sdwa v8, v8 src0_sel:BYTE_0
	v_accvgpr_read_b32 v9, a47
	v_cvt_f32_bf8_sdwa v9, v9 src0_sel:BYTE_0
	v_mov_b32_e32 v43, 0
	v_mul_f32_e32 v8, v48, v8
	v_med3_f32 v32, v8, s59, v39
	v_mul_f32_e32 v9, v48, v9
	v_cmp_nlg_f32_e64 vcc, |v8|, s58
	v_mov_b32_e32 v48, 0
	v_mov_b32_e32 v44, 0
	v_cndmask_b32_e32 v8, v32, v8, vcc
	v_med3_f32 v32, v9, s59, v39
	v_cmp_nlg_f32_e64 vcc, |v9|, s58
	v_cvt_pk_bf8_f32 v36, v8, v8
	v_accvgpr_read_b32 v8, a49
	v_cndmask_b32_e32 v9, v32, v9, vcc
	v_cvt_pk_bf8_f32 v41, v9, v9
	v_cvt_pk_f32_bf8_e32 v[8:9], v8
	v_cvt_pk_bf8_f32 v48, v0, v1
	v_cvt_pk_bf8_f32 v43, v34, v35
	v_lshlrev_b32_e32 v32, 8, v41
	v_perm_b32 v32, v32, v36, s61
	v_cvt_pk_f32_bf8_e32 v[32:33], v32
	;;#ASMSTART
	v_pk_add_f32 v[8:9], v[32:33], v[8:9]
	;;#ASMEND
	v_mov_b32_e32 v32, 0
	v_mov_b32_e32 v33, 0
	v_cvt_pk_bf8_f32 v32, v6, v7
	v_cvt_pk_bf8_f32 v44, v52, v53
	;; [unrolled: 1-line block ×3, first 2 shown]
	v_and_b32_e32 v0, 0xffff, v5
	v_and_b32_e32 v1, 0xffff, v37
	;; [unrolled: 1-line block ×4, first 2 shown]
	v_cmp_gt_i32_e32 vcc, 1, v38
	v_and_b32_e32 v8, 0xffff, v40
	v_and_b32_e32 v9, 0xffff, v49
	;; [unrolled: 1-line block ×4, first 2 shown]
	v_lshl_or_b32 v4, v4, 16, v0
	v_lshl_or_b32 v5, v54, 16, v1
	;; [unrolled: 1-line block ×4, first 2 shown]
	s_or_b64 s[36:37], vcc, s[36:37]
	v_lshl_or_b32 v8, v45, 16, v8
	v_lshl_or_b32 v9, v43, 16, v9
	v_lshl_or_b32 v10, v44, 16, v10
	v_lshl_or_b32 v11, v33, 16, v11
	global_store_dwordx4 v[60:61], v[4:7], off nt
	global_store_dwordx4 v[60:61], v[8:11], off offset:1024 nt
	v_lshl_add_u64 v[60:61], v[60:61], 0, v[56:57]
	s_andn2_b64 exec, exec, s[36:37]
	s_cbranch_execnz .LBB4_298
; %bb.299:                              ;   in Loop: Header=BB4_226 Depth=1
	s_or_b64 exec, exec, s[36:37]
	v_accvgpr_read_b32 v25, a7
	v_accvgpr_read_b32 v59, a9
	;; [unrolled: 1-line block ×33, first 2 shown]
	v_mov_b32_e32 v60, 0xc7600000
	v_accvgpr_read_b32 v54, a44
	v_accvgpr_read_b32 v23, a45
	;; [unrolled: 1-line block ×3, first 2 shown]
.LBB4_300:                              ;   in Loop: Header=BB4_226 Depth=1
	s_or_b64 exec, exec, s[14:15]
	v_and_b32_e32 v3, 0x3ffff800, v14
	v_cmp_ne_u32_e32 vcc, v3, v14
	s_mov_b64 s[14:15], 0
	v_mov_b32_e32 v37, 0
                                        ; implicit-def: $vgpr4
                                        ; implicit-def: $vgpr5
                                        ; implicit-def: $vgpr2
	s_and_saveexec_b64 s[36:37], vcc
	s_cbranch_execz .LBB4_308
; %bb.301:                              ;   in Loop: Header=BB4_226 Depth=1
	v_lshlrev_b32_e32 v0, 6, v38
	v_accvgpr_read_b32 v2, a32
	v_sub_u32_e32 v0, v2, v0
	v_ashrrev_i32_e32 v2, 31, v0
	v_lshrrev_b32_e32 v2, 26, v2
	v_add_u32_e32 v2, v0, v2
	v_ashrrev_i32_e32 v4, 6, v2
	v_and_b32_e32 v2, 0xffffffc0, v2
	v_and_b32_e32 v1, 0x7ff, v14
	v_sub_u32_e32 v8, v0, v2
	v_and_b32_e32 v6, 0x400, v14
	v_lshlrev_b32_e32 v2, 4, v8
	v_sub_u32_e32 v6, v1, v6
	v_lshl_add_u32 v2, v4, 10, v2
	v_bfe_u32 v5, v14, 10, 1
	v_cmp_lt_i32_e32 vcc, 15, v6
	v_sub_u32_e32 v56, v1, v2
	s_nop 0
	v_addc_co_u32_e64 v1, s[14:15], 0, v5, vcc
	v_sub_u32_e32 v1, v1, v4
	v_cmp_lt_i32_e64 s[14:15], 15, v56
	s_and_saveexec_b64 s[38:39], s[14:15]
	s_cbranch_execz .LBB4_305
; %bb.302:                              ;   in Loop: Header=BB4_226 Depth=1
	v_accvgpr_write_b32 a45, v8
	s_trap 2
	ds_read_b128 v[8:11], v0
	ds_read_b64 v[4:5], v0
	v_accvgpr_write_b32 a49, v13
	v_accvgpr_write_b32 a48, v12
	v_add_u32_e32 v12, v2, v3
	v_accvgpr_write_b32 a30, v52
	v_accvgpr_write_b32 a27, v17
	v_accvgpr_write_b32 a24, v50
	v_accvgpr_write_b32 a14, v32
	v_ashrrev_i32_e32 v13, 31, v12
	v_accvgpr_write_b32 a51, v47
	v_accvgpr_write_b32 a46, v6
	;; [unrolled: 1-line block ×13, first 2 shown]
	s_waitcnt lgkmcnt(0)
	v_lshl_add_u64 v[2:3], v[8:9], 0, v[12:13]
	v_lshl_add_u64 v[18:19], v[10:11], 0, v[12:13]
	v_accvgpr_write_b32 a47, v21
	s_waitcnt lgkmcnt(0)
	v_lshl_add_u64 v[20:21], v[4:5], 0, v[12:13]
	s_mov_b64 s[40:41], 0
	v_accvgpr_write_b32 a50, v46
.LBB4_303:                              ;   Parent Loop BB4_226 Depth=1
                                        ; =>  This Inner Loop Header: Depth=2
	s_trap 2
	global_load_dwordx4 v[10:13], v[2:3], off nt
	global_load_dwordx4 v[14:17], v[18:19], off nt
	ds_read_b32 v39, v0
	v_mov_b32_e32 v29, 0
	v_mov_b32_e32 v30, 0
	;; [unrolled: 1-line block ×20, first 2 shown]
	v_accvgpr_read_b32 v6, a48
	v_accvgpr_read_b32 v7, a49
	v_lshl_add_u64 v[2:3], v[2:3], 0, v[6:7]
	v_lshl_add_u64 v[18:19], v[18:19], 0, v[6:7]
	s_waitcnt vmcnt(0)
	v_and_b32_e32 v48, 0xff, v10
	s_waitcnt vmcnt(0)
	v_lshrrev_b32_e32 v37, 16, v17
	v_and_b32_e32 v4, 0xffff, v17
	s_waitcnt lgkmcnt(0)
	v_and_b32_e32 v17, 0xff, v39
	v_bfe_u32 v49, v10, 8, 8
	v_lshrrev_b32_e32 v50, 24, v10
	v_bfe_u32 v51, v10, 16, 8
	v_and_b32_e32 v52, 0xff, v11
	v_bfe_u32 v53, v11, 8, 8
	v_lshrrev_b32_e32 v54, 24, v11
	v_bfe_u32 v55, v11, 16, 8
	;; [unrolled: 4-line block ×4, first 2 shown]
	v_cvt_f32_bf8_sdwa v17, v17 src0_sel:BYTE_0
	v_cvt_f32_bf8_sdwa v39, v48 src0_sel:BYTE_0
	;; [unrolled: 1-line block ×17, first 2 shown]
	v_mul_f32_e32 v39, v17, v39
	v_mul_f32_e32 v48, v17, v48
	;; [unrolled: 1-line block ×16, first 2 shown]
	v_med3_f32 v46, v39, s59, v60
	v_cmp_nlg_f32_e64 s[14:15], |v39|, s58
	v_lshrrev_b32_e32 v0, 16, v14
	v_lshrrev_b32_e32 v13, 16, v15
	v_cndmask_b32_e64 v39, v46, v39, s[14:15]
	v_med3_f32 v46, v48, s59, v60
	v_cmp_nlg_f32_e64 s[14:15], |v48|, s58
	v_cvt_pk_bf8_f32 v9, v39, v39
	v_accvgpr_write_b32 a52, v0
	v_cndmask_b32_e64 v48, v46, v48, s[14:15]
	v_med3_f32 v46, v49, s59, v60
	v_cmp_nlg_f32_e64 s[14:15], |v49|, s58
	v_cvt_pk_bf8_f32 v29, v48, v48
	v_and_b32_e32 v14, 0xffff, v14
	v_cndmask_b32_e64 v49, v46, v49, s[14:15]
	v_med3_f32 v46, v50, s59, v60
	v_cmp_nlg_f32_e64 s[14:15], |v50|, s58
	v_cvt_pk_bf8_f32 v23, v49, v49
	v_and_b32_e32 v15, 0xffff, v15
	v_cndmask_b32_e64 v50, v46, v50, s[14:15]
	v_med3_f32 v46, v51, s59, v60
	v_cmp_nlg_f32_e64 s[14:15], |v51|, s58
	v_cvt_pk_bf8_f32 v30, v50, v50
	v_lshrrev_b32_e32 v36, 16, v16
	v_cndmask_b32_e64 v46, v46, v51, s[14:15]
	v_med3_f32 v51, v52, s59, v60
	v_cmp_nlg_f32_e64 s[14:15], |v52|, s58
	v_cvt_pk_bf8_f32 v22, v46, v46
	v_and_b32_e32 v16, 0xffff, v16
	v_cndmask_b32_e64 v52, v51, v52, s[14:15]
	v_med3_f32 v51, v53, s59, v60
	v_cmp_nlg_f32_e64 s[14:15], |v53|, s58
	v_cvt_pk_bf8_f32 v31, v52, v52
	v_cvt_pk_f32_bf8_e32 v[48:49], v14
	v_cndmask_b32_e64 v47, v51, v53, s[14:15]
	v_med3_f32 v51, v54, s59, v60
	v_cmp_nlg_f32_e64 s[14:15], |v54|, s58
	v_cvt_pk_bf8_f32 v25, v47, v47
	v_cvt_pk_f32_bf8_e32 v[52:53], v13
	v_cndmask_b32_e64 v54, v51, v54, s[14:15]
	v_med3_f32 v51, v55, s59, v60
	v_cmp_nlg_f32_e64 s[14:15], |v55|, s58
	v_cvt_pk_bf8_f32 v32, v54, v54
	v_lshlrev_b32_e32 v13, 8, v30
	v_cndmask_b32_e64 v57, v51, v55, s[14:15]
	v_med3_f32 v51, v40, s59, v60
	v_cmp_nlg_f32_e64 s[14:15], |v40|, s58
	v_cvt_pk_bf8_f32 v24, v57, v57
	v_lshlrev_b32_e32 v30, 8, v32
	v_cndmask_b32_e64 v58, v51, v40, s[14:15]
	v_med3_f32 v51, v41, s59, v60
	v_cmp_nlg_f32_e64 s[14:15], |v41|, s58
	v_cvt_pk_bf8_f32 v33, v58, v58
	v_accvgpr_read_b32 v14, a52
	v_cndmask_b32_e64 v59, v51, v41, s[14:15]
	v_med3_f32 v51, v42, s59, v60
	v_cmp_nlg_f32_e64 s[14:15], |v42|, s58
	v_accvgpr_read_b32 v40, a50
	v_cvt_pk_bf8_f32 v27, v59, v59
	v_cndmask_b32_e64 v42, v51, v42, s[14:15]
	v_med3_f32 v51, v43, s59, v60
	v_cmp_nlg_f32_e64 s[14:15], |v43|, s58
	v_cvt_pk_bf8_f32 v34, v42, v42
	v_accvgpr_read_b32 v41, a51
	v_cndmask_b32_e64 v43, v51, v43, s[14:15]
	v_med3_f32 v51, v44, s59, v60
	v_cmp_nlg_f32_e64 s[14:15], |v44|, s58
	v_cvt_pk_bf8_f32 v26, v43, v43
	v_sub_u32_e32 v1, v1, v40
	v_cndmask_b32_e64 v44, v51, v44, s[14:15]
	v_med3_f32 v51, v45, s59, v60
	v_cmp_nlg_f32_e64 s[14:15], |v45|, s58
	v_cvt_pk_bf8_f32 v35, v44, v44
	v_cvt_pk_f32_bf8_e32 v[40:41], v4
	v_cndmask_b32_e64 v45, v51, v45, s[14:15]
	v_med3_f32 v51, v17, s59, v60
	v_cmp_nlg_f32_e64 s[14:15], |v17|, s58
	v_cvt_pk_bf8_f32 v28, v45, v45
	v_lshlrev_b32_e32 v4, 8, v29
	v_cndmask_b32_e64 v60, v51, v17, s[14:15]
	v_cvt_pk_bf8_f32 v38, v60, v60
	v_lshlrev_b32_e32 v29, 8, v31
	v_lshlrev_b32_e32 v31, 8, v33
	v_accvgpr_read_b32 v17, a47
	v_lshlrev_b32_e32 v32, 8, v34
	v_lshlrev_b32_e32 v33, 8, v35
	;; [unrolled: 1-line block ×3, first 2 shown]
	v_perm_b32 v13, v13, v23, s61
	v_perm_b32 v4, v4, v9, s61
	;; [unrolled: 1-line block ×5, first 2 shown]
	v_mov_b32_e32 v11, 0
	v_mov_b32_e32 v12, 0
	v_sub_u32_e32 v56, v56, v17
	v_cvt_pk_f32_bf8_e32 v[50:51], v14
	v_cvt_pk_f32_bf8_e32 v[14:15], v15
	;; [unrolled: 1-line block ×3, first 2 shown]
	v_perm_b32 v32, v32, v27, s61
	v_perm_b32 v38, v34, v28, s61
	;; [unrolled: 1-line block ×3, first 2 shown]
	v_cvt_pk_f32_bf8_e32 v[22:23], v4
	v_cvt_pk_f32_bf8_e32 v[24:25], v13
	;; [unrolled: 1-line block ×5, first 2 shown]
	v_mov_b32_e32 v10, 0
	v_mov_b32_e32 v0, 0
	v_cvt_pk_f32_bf8_e32 v[54:55], v36
	v_cvt_pk_f32_bf8_e32 v[32:33], v32
	;; [unrolled: 1-line block ×3, first 2 shown]
	;;#ASMSTART
	v_pk_add_f32 v[22:23], v[22:23], v[48:49]
	;;#ASMEND
	;;#ASMSTART
	v_pk_add_f32 v[24:25], v[24:25], v[50:51]
	;;#ASMEND
	;; [unrolled: 3-line block ×7, first 2 shown]
	v_cvt_pk_f32_bf8_e32 v[36:37], v37
	v_cvt_pk_bf8_f32 v5, v22, v23
	v_cvt_pk_bf8_f32 v11, v14, v15
	;; [unrolled: 1-line block ×4, first 2 shown]
	v_cvt_pk_f32_bf8_e32 v[38:39], v38
	;;#ASMSTART
	v_pk_add_f32 v[32:33], v[38:39], v[36:37]
	;;#ASMEND
	v_cvt_pk_bf8_f32 v8, v24, v25
	v_cvt_pk_bf8_f32 v10, v26, v27
	;; [unrolled: 1-line block ×4, first 2 shown]
	v_and_b32_e32 v4, 0xffff, v5
	v_and_b32_e32 v5, 0xffff, v11
	;; [unrolled: 1-line block ×4, first 2 shown]
	v_cmp_gt_i32_e64 s[14:15], 16, v56
	v_lshl_or_b32 v8, v8, 16, v4
	v_lshl_or_b32 v9, v10, 16, v5
	v_lshl_or_b32 v10, v61, 16, v11
	v_lshl_or_b32 v11, v0, 16, v12
	s_or_b64 s[40:41], s[14:15], s[40:41]
	v_mov_b32_e32 v60, 0xc7600000
	global_store_dwordx4 v[20:21], v[8:11], off nt
	v_lshl_add_u64 v[20:21], v[20:21], 0, v[6:7]
	s_andn2_b64 exec, exec, s[40:41]
	s_cbranch_execnz .LBB4_303
; %bb.304:                              ;   in Loop: Header=BB4_226 Depth=1
	s_or_b64 exec, exec, s[40:41]
	v_accvgpr_read_b32 v25, a7
	v_accvgpr_read_b32 v59, a9
	;; [unrolled: 1-line block ×40, first 2 shown]
.LBB4_305:                              ;   in Loop: Header=BB4_226 Depth=1
	s_or_b64 exec, exec, s[38:39]
	v_and_b32_e32 v3, 15, v14
	v_cndmask_b32_e32 v4, v6, v3, vcc
	v_cmp_ne_u32_e64 s[14:15], 0, v4
	s_mov_b64 s[38:39], 0
	v_mov_b32_e32 v37, 0
                                        ; implicit-def: $vgpr5
                                        ; implicit-def: $vgpr2
	s_and_saveexec_b64 s[40:41], s[14:15]
	s_cbranch_execz .LBB4_307
; %bb.306:                              ;   in Loop: Header=BB4_226 Depth=1
	v_sub_u32_e32 v2, v6, v3
	v_and_b32_e32 v0, 0x3ffffc00, v14
	v_cndmask_b32_e32 v2, 0, v2, vcc
	v_cmp_lt_i32_e32 vcc, 0, v1
	v_add_u32_e32 v37, v2, v0
	s_mov_b64 s[38:39], exec
	v_cndmask_b32_e32 v0, 0, v46, vcc
	v_sub_u32_e32 v0, v0, v1
	v_lshl_add_u32 v5, v0, 6, v8
	v_ashrrev_i32_e32 v0, 31, v5
	v_lshrrev_b32_e32 v0, 26, v0
	v_add_u32_e32 v0, v5, v0
	v_ashrrev_i32_e32 v2, 6, v0
.LBB4_307:                              ;   in Loop: Header=BB4_226 Depth=1
	s_or_b64 exec, exec, s[40:41]
	s_and_b64 s[14:15], s[38:39], exec
.LBB4_308:                              ;   in Loop: Header=BB4_226 Depth=1
	s_or_b64 exec, exec, s[36:37]
	s_and_saveexec_b64 s[36:37], s[14:15]
	s_cbranch_execz .LBB4_317
.LBB4_309:                              ;   in Loop: Header=BB4_226 Depth=1
	v_ashrrev_i32_e32 v0, 31, v4
	v_lshrrev_b32_e32 v0, 22, v0
	v_add_u32_e32 v0, v4, v0
	v_ashrrev_i32_e32 v6, 10, v0
	v_sub_u32_e32 v3, v6, v2
	v_ashrrev_i32_e32 v0, 31, v5
	v_cmp_lt_i32_e32 vcc, 0, v3
	v_lshrrev_b32_e32 v1, 26, v0
	s_and_saveexec_b64 s[38:39], vcc
	s_cbranch_execz .LBB4_313
; %bb.310:                              ;   in Loop: Header=BB4_226 Depth=1
	v_add_u32_e32 v0, v5, v1
	v_and_b32_e32 v0, 0xffffffc0, v0
	v_accvgpr_write_b32 a49, v6
	v_accvgpr_write_b32 a46, v4
	s_trap 2
	v_accvgpr_write_b32 a48, v1
	v_accvgpr_write_b32 a47, v5
	;; [unrolled: 1-line block ×3, first 2 shown]
	v_sub_u32_e32 v3, v5, v0
	ds_read_b128 v[4:7], v0
	ds_read_b64 v[0:1], v0
	v_lshlrev_b32_e32 v2, 10, v2
	v_add3_u32 v8, v37, v3, v2
	v_accvgpr_write_b32 a30, v52
	v_accvgpr_write_b32 a27, v17
	v_accvgpr_write_b32 a24, v50
	v_accvgpr_write_b32 a14, v32
	v_ashrrev_i32_e32 v9, 31, v8
	s_waitcnt lgkmcnt(0)
	v_lshl_add_u64 v[0:1], v[0:1], 0, s[28:29]
	v_accvgpr_write_b32 a53, v13
	v_accvgpr_write_b32 a55, v47
	;; [unrolled: 1-line block ×14, first 2 shown]
	v_lshl_add_u64 v[58:59], v[4:5], 0, v[8:9]
	v_lshl_add_u64 v[10:11], v[6:7], 0, v[8:9]
	v_accvgpr_write_b32 a52, v12
	v_lshl_add_u64 v[12:13], v[0:1], 0, v[8:9]
	s_mov_b64 s[40:41], 0
	v_accvgpr_write_b32 a54, v46
.LBB4_311:                              ;   Parent Loop BB4_226 Depth=1
                                        ; =>  This Inner Loop Header: Depth=2
	s_trap 2
	flat_load_ubyte v7, v[58:59] nt
	flat_load_ubyte v8, v[10:11] nt
	flat_load_ubyte v18, v[58:59] offset:64 nt
	flat_load_ubyte v19, v[10:11] offset:64 nt
	;; [unrolled: 1-line block ×3, first 2 shown]
	ds_read_b32 v14, v0
	flat_load_ubyte v32, v[10:11] offset:128 nt
	flat_load_ubyte v41, v[58:59] offset:192 nt
	;; [unrolled: 1-line block ×27, first 2 shown]
	v_mov_b32_e32 v16, 0
	v_mov_b32_e32 v20, 0
	s_waitcnt lgkmcnt(0)
	v_and_b32_e32 v14, 0xff, v14
	v_cvt_f32_bf8_sdwa v57, v14 src0_sel:BYTE_0
	v_mov_b32_e32 v22, 0
	v_mov_b32_e32 v23, 0
	;; [unrolled: 1-line block ×15, first 2 shown]
	s_waitcnt vmcnt(0)
	v_cvt_f32_bf8_sdwa v4, v4 src0_sel:BYTE_0
	s_nop 0
	v_mul_f32_e32 v4, v57, v4
	v_cvt_f32_bf8_sdwa v7, v7 src0_sel:BYTE_0
	s_nop 0
	v_mul_f32_e32 v7, v57, v7
	v_med3_f32 v14, v7, s59, v60
	v_cmp_nlg_f32_e64 vcc, |v7|, s58
	s_nop 1
	v_cndmask_b32_e32 v7, v14, v7, vcc
	v_cvt_pk_bf8_f32 v16, v7, v7
	v_cvt_pk_f32_bf8_e32 v[14:15], v8
	v_and_b32_e32 v7, 0xff, v16
	v_cvt_pk_f32_bf8_e32 v[16:17], v7
	v_cvt_f32_bf8_sdwa v7, v18 src0_sel:BYTE_0
	;;#ASMSTART
	v_pk_add_f32 v[14:15], v[16:17], v[14:15]
	;;#ASMEND
	v_cvt_pk_f32_bf8_e32 v[16:17], v19
	v_mov_b32_e32 v15, 0
	v_mul_f32_e32 v7, v57, v7
	v_med3_f32 v8, v7, s59, v60
	v_cmp_nlg_f32_e64 vcc, |v7|, s58
	v_cvt_pk_bf8_f32 v45, v14, v14
	s_nop 0
	v_cndmask_b32_e32 v7, v8, v7, vcc
	v_cvt_pk_bf8_f32 v20, v7, v7
	v_and_b32_e32 v7, 0xff, v20
	v_cvt_pk_f32_bf8_e32 v[18:19], v7
	v_cvt_f32_bf8_sdwa v7, v21 src0_sel:BYTE_0
	;;#ASMSTART
	v_pk_add_f32 v[16:17], v[18:19], v[16:17]
	;;#ASMEND
	v_cvt_pk_f32_bf8_e32 v[18:19], v32
	v_mov_b32_e32 v32, 0
	v_mul_f32_e32 v7, v57, v7
	v_med3_f32 v8, v7, s59, v60
	v_cmp_nlg_f32_e64 vcc, |v7|, s58
	s_nop 1
	v_cndmask_b32_e32 v7, v8, v7, vcc
	v_cvt_pk_bf8_f32 v22, v7, v7
	v_and_b32_e32 v7, 0xff, v22
	v_cvt_pk_f32_bf8_e32 v[20:21], v7
	v_cvt_f32_bf8_sdwa v7, v41 src0_sel:BYTE_0
	;;#ASMSTART
	v_pk_add_f32 v[18:19], v[20:21], v[18:19]
	;;#ASMEND
	v_cvt_pk_f32_bf8_e32 v[20:21], v43
	v_mov_b32_e32 v41, 0
	v_mul_f32_e32 v7, v57, v7
	v_med3_f32 v8, v7, s59, v60
	v_cmp_nlg_f32_e64 vcc, |v7|, s58
	s_nop 1
	v_cndmask_b32_e32 v7, v8, v7, vcc
	v_cvt_pk_bf8_f32 v23, v7, v7
	v_and_b32_e32 v7, 0xff, v23
	v_cvt_pk_f32_bf8_e32 v[22:23], v7
	v_cvt_f32_bf8_sdwa v7, v42 src0_sel:BYTE_0
	;;#ASMSTART
	v_pk_add_f32 v[20:21], v[22:23], v[20:21]
	;;#ASMEND
	v_cvt_pk_f32_bf8_e32 v[22:23], v46
	v_mul_f32_e32 v7, v57, v7
	v_med3_f32 v8, v7, s59, v60
	v_cmp_nlg_f32_e64 vcc, |v7|, s58
	s_nop 1
	v_cndmask_b32_e32 v7, v8, v7, vcc
	v_cvt_pk_bf8_f32 v25, v7, v7
	v_mov_b32_e32 v8, 0
	v_cvt_pk_bf8_f32 v8, v16, v16
	v_and_b32_e32 v7, 0xff, v25
	v_cvt_pk_f32_bf8_e32 v[42:43], v7
	v_cvt_f32_bf8_sdwa v7, v44 src0_sel:BYTE_0
	;;#ASMSTART
	v_pk_add_f32 v[22:23], v[42:43], v[22:23]
	;;#ASMEND
	v_cvt_pk_f32_bf8_e32 v[42:43], v47
	v_mov_b32_e32 v44, 0
	v_mul_f32_e32 v7, v57, v7
	v_med3_f32 v17, v7, s59, v60
	v_cmp_nlg_f32_e64 vcc, |v7|, s58
	v_cvt_pk_bf8_f32 v44, v22, v22
	s_nop 0
	v_cndmask_b32_e32 v7, v17, v7, vcc
	v_cvt_pk_bf8_f32 v24, v7, v7
	v_and_b32_e32 v7, 0xff, v24
	v_cvt_pk_f32_bf8_e32 v[24:25], v7
	v_cvt_f32_bf8_sdwa v7, v30 src0_sel:BYTE_0
	v_cvt_pk_f32_bf8_e32 v[30:31], v31
	;;#ASMSTART
	v_pk_add_f32 v[24:25], v[24:25], v[42:43]
	;;#ASMEND
	v_cvt_pk_f32_bf8_e32 v[42:43], v37
	v_mul_f32_e32 v7, v57, v7
	v_med3_f32 v17, v7, s59, v60
	v_cmp_nlg_f32_e64 vcc, |v7|, s58
	v_cvt_pk_f32_bf8_e32 v[36:37], v36
	s_nop 0
	v_cndmask_b32_e32 v7, v17, v7, vcc
	v_cvt_pk_bf8_f32 v6, v7, v7
	v_and_b32_e32 v6, 0xff, v6
	v_cvt_pk_f32_bf8_e32 v[6:7], v6
	;;#ASMSTART
	v_pk_add_f32 v[30:31], v[6:7], v[30:31]
	;;#ASMEND
	v_cvt_f32_bf8_sdwa v6, v9 src0_sel:BYTE_0
	v_mov_b32_e32 v7, 0
	v_cvt_pk_bf8_f32 v7, v18, v18
	v_mul_f32_e32 v6, v57, v6
	v_med3_f32 v9, v6, s59, v60
	v_cmp_nlg_f32_e64 vcc, |v6|, s58
	s_nop 1
	v_cndmask_b32_e32 v6, v9, v6, vcc
	v_cvt_pk_bf8_f32 v33, v6, v6
	v_cmp_nlg_f32_e64 vcc, |v4|, s58
	v_mov_b32_e32 v9, 0xc7600000
	v_and_b32_e32 v6, 0xff, v33
	v_cvt_pk_f32_bf8_e32 v[46:47], v6
	v_med3_f32 v6, v4, s59, v60
	v_cndmask_b32_e32 v4, v6, v4, vcc
	v_cvt_pk_bf8_f32 v28, v4, v4
	;;#ASMSTART
	v_pk_add_f32 v[2:3], v[46:47], v[42:43]
	;;#ASMEND
	v_mov_b32_e32 v46, 0
	v_mov_b32_e32 v33, 0
	v_and_b32_e32 v4, 0xff, v28
	v_cvt_pk_f32_bf8_e32 v[42:43], v4
	v_cvt_f32_bf8_sdwa v4, v29 src0_sel:BYTE_0
	;;#ASMSTART
	v_pk_add_f32 v[60:61], v[42:43], v[36:37]
	;;#ASMEND
	v_cvt_pk_f32_bf8_e32 v[28:29], v49
	v_mov_b32_e32 v61, 0
	v_mul_f32_e32 v4, v57, v4
	v_med3_f32 v6, v4, s59, v9
	v_cmp_nlg_f32_e64 vcc, |v4|, s58
	v_cvt_pk_bf8_f32 v61, v20, v20
	v_mov_b32_e32 v49, 0
	v_cndmask_b32_e32 v4, v6, v4, vcc
	v_cvt_pk_bf8_f32 v27, v4, v4
	v_mov_b32_e32 v47, 0
	v_mov_b32_e32 v42, 0
	;; [unrolled: 1-line block ×3, first 2 shown]
	v_and_b32_e32 v4, 0xff, v27
	v_cvt_pk_f32_bf8_e32 v[36:37], v4
	v_cvt_f32_bf8_sdwa v4, v50 src0_sel:BYTE_0
	;;#ASMSTART
	v_pk_add_f32 v[28:29], v[36:37], v[28:29]
	;;#ASMEND
	v_cvt_pk_f32_bf8_e32 v[36:37], v51
	v_mov_b32_e32 v51, 0
	v_mul_f32_e32 v4, v57, v4
	v_med3_f32 v6, v4, s59, v9
	v_cmp_nlg_f32_e64 vcc, |v4|, s58
	v_mov_b32_e32 v50, 0
	s_nop 0
	v_cndmask_b32_e32 v4, v6, v4, vcc
	v_cvt_pk_bf8_f32 v26, v4, v4
	v_and_b32_e32 v4, 0xff, v26
	v_cvt_pk_f32_bf8_e32 v[26:27], v4
	v_cvt_f32_bf8_sdwa v4, v34 src0_sel:BYTE_0
	;;#ASMSTART
	v_pk_add_f32 v[26:27], v[26:27], v[36:37]
	;;#ASMEND
	v_cvt_pk_f32_bf8_e32 v[34:35], v35
	v_mul_f32_e32 v4, v57, v4
	v_med3_f32 v6, v4, s59, v9
	v_cmp_nlg_f32_e64 vcc, |v4|, s58
	s_nop 1
	v_cndmask_b32_e32 v4, v6, v4, vcc
	v_cvt_pk_bf8_f32 v1, v4, v4
	v_mov_b32_e32 v6, 0
	v_cvt_pk_bf8_f32 v6, v28, v28
	v_and_b32_e32 v1, 0xff, v1
	v_cvt_pk_f32_bf8_e32 v[36:37], v1
	v_cvt_f32_bf8_sdwa v1, v5 src0_sel:BYTE_0
	;;#ASMSTART
	v_pk_add_f32 v[34:35], v[36:37], v[34:35]
	;;#ASMEND
	v_cvt_f32_i32_e32 v6, v6
	v_mov_b32_e32 v35, 0
	v_mul_f32_e32 v1, v57, v1
	v_med3_f32 v4, v1, s59, v9
	v_cmp_nlg_f32_e64 vcc, |v1|, s58
	v_cvt_pk_bf8_f32 v35, v24, v24
	s_nop 0
	v_cndmask_b32_e32 v1, v4, v1, vcc
	v_cvt_pk_bf8_f32 v0, v1, v1
	v_cvt_pk_f32_bf8_e32 v[4:5], v40
	v_mov_b32_e32 v40, 0
	v_and_b32_e32 v0, 0xff, v0
	v_cvt_pk_f32_bf8_e32 v[0:1], v0
	;;#ASMSTART
	v_pk_add_f32 v[0:1], v[0:1], v[4:5]
	;;#ASMEND
	s_nop 0
	v_cvt_f32_bf8_sdwa v1, v54 src0_sel:BYTE_0
	s_nop 0
	v_mul_f32_e32 v1, v57, v1
	v_med3_f32 v4, v1, s59, v9
	v_cmp_nlg_f32_e64 vcc, |v1|, s58
	s_nop 1
	v_cndmask_b32_e32 v1, v4, v1, vcc
	v_cvt_pk_bf8_f32 v52, v1, v1
	v_cvt_pk_f32_bf8_e32 v[4:5], v55
	v_and_b32_e32 v1, 0xff, v52
	v_cvt_pk_f32_bf8_e32 v[36:37], v1
	v_cvt_f32_bf8_sdwa v1, v53 src0_sel:BYTE_0
	;;#ASMSTART
	v_pk_add_f32 v[54:55], v[36:37], v[4:5]
	;;#ASMEND
	s_nop 0
	v_cvt_pk_bf8_f32 v62, v54, v54
	v_mul_f32_e32 v1, v57, v1
	v_med3_f32 v4, v1, s59, v9
	v_cmp_nlg_f32_e64 vcc, |v1|, s58
	v_mov_b32_e32 v54, 0
	v_mov_b32_e32 v55, 0
	v_cndmask_b32_e32 v1, v4, v1, vcc
	v_cvt_pk_bf8_f32 v56, v1, v1
	v_cvt_pk_f32_bf8_e32 v[4:5], v48
	v_mov_b32_e32 v48, 0
	v_and_b32_e32 v1, 0xff, v56
	v_cvt_pk_f32_bf8_e32 v[36:37], v1
	v_cvt_f32_bf8_sdwa v1, v38 src0_sel:BYTE_0
	;;#ASMSTART
	v_pk_add_f32 v[52:53], v[36:37], v[4:5]
	;;#ASMEND
	v_cvt_pk_f32_bf8_e32 v[36:37], v39
	v_cvt_pk_bf8_f32 v46, v52, v52
	v_mul_f32_e32 v1, v57, v1
	v_med3_f32 v4, v1, s59, v9
	v_cmp_nlg_f32_e64 vcc, |v1|, s58
	v_mov_b32_e32 v57, 0
	v_cvt_pk_bf8_f32 v57, v0, v0
	v_cndmask_b32_e32 v1, v4, v1, vcc
	v_cvt_pk_bf8_f32 v15, v1, v1
	v_add_co_u32_e32 v14, vcc, s62, v12
	v_mov_b32_e32 v4, 0
	v_and_b32_e32 v1, 0xff, v15
	v_addc_co_u32_e32 v15, vcc, -1, v13, vcc
	v_add_co_u32_e32 v16, vcc, s63, v12
	v_cvt_pk_f32_bf8_e32 v[38:39], v1
	s_nop 0
	v_addc_co_u32_e32 v17, vcc, -1, v13, vcc
	v_add_co_u32_e32 v18, vcc, s64, v12
	v_cvt_pk_bf8_f32 v4, v60, v60
	s_nop 0
	v_addc_co_u32_e32 v19, vcc, -1, v13, vcc
	v_cvt_f32_i32_e32 v0, v45
	v_cvt_f32_i32_e32 v1, v8
	v_add_co_u32_e32 v20, vcc, s65, v12
	v_mov_b32_e32 v60, 0xc7600000
	s_nop 0
	v_addc_co_u32_e32 v21, vcc, -1, v13, vcc
	v_add_co_u32_e32 v22, vcc, s66, v12
	;;#ASMSTART
	v_pk_add_f32 v[38:39], v[38:39], v[36:37]
	;;#ASMEND
	v_mov_b32_e32 v36, 0
	s_nop 0
	v_addc_co_u32_e32 v23, vcc, -1, v13, vcc
	v_med3_f32 v0, v0, s59, v60
	v_med3_f32 v1, v1, s59, v60
	v_mov_b32_e32 v52, 0
	v_cvt_f32_i32_e32 v4, v4
	v_cvt_pk_bf8_f32 v36, v26, v26
	v_add_co_u32_e32 v24, vcc, s67, v12
	v_cvt_pk_bf8_f32 v52, v0, v0
	v_cvt_pk_bf8_f32 v54, v1, v1
	v_accvgpr_read_b32 v8, a50
	v_accvgpr_read_b32 v0, a54
	v_addc_co_u32_e32 v25, vcc, -1, v13, vcc
	v_sub_u32_e32 v8, v8, v0
	v_mov_b32_e32 v9, 0
	v_add_co_u32_e32 v28, vcc, s68, v12
	v_accvgpr_write_b32 a50, v8
	v_cmp_gt_i32_e64 s[14:15], 1, v8
	v_cvt_f32_i32_e32 v8, v35
	v_mov_b32_e32 v56, 0
	v_cvt_pk_bf8_f32 v9, v2, v2
	v_addc_co_u32_e32 v29, vcc, -1, v13, vcc
	v_accvgpr_read_b32 v1, a55
	v_cvt_f32_i32_e32 v0, v7
	v_med3_f32 v4, v4, s59, v60
	v_cvt_pk_bf8_f32 v56, v30, v30
	v_add_co_u32_e32 v30, vcc, s69, v12
	v_cvt_f32_i32_e32 v1, v61
	v_cvt_pk_bf8_f32 v48, v4, v4
	v_cvt_f32_i32_e32 v4, v36
	v_addc_co_u32_e32 v31, vcc, -1, v13, vcc
	v_cvt_f32_i32_e32 v7, v44
	v_mov_b32_e32 v37, 0
	v_add_co_u32_e32 v26, vcc, s70, v12
	v_med3_f32 v8, v8, s59, v60
	v_cvt_pk_bf8_f32 v37, v34, v34
	v_addc_co_u32_e32 v27, vcc, -1, v13, vcc
	v_med3_f32 v0, v0, s59, v60
	v_cvt_pk_bf8_f32 v55, v8, v8
	v_cvt_f32_i32_e32 v8, v9
	v_med3_f32 v1, v1, s59, v60
	v_cvt_pk_bf8_f32 v33, v0, v0
	v_add_co_u32_e32 v0, vcc, s71, v12
	v_med3_f32 v4, v4, s59, v60
	v_cvt_pk_bf8_f32 v47, v38, v38
	v_cvt_pk_bf8_f32 v49, v1, v1
	v_addc_co_u32_e32 v1, vcc, -1, v13, vcc
	v_med3_f32 v7, v7, s59, v60
	v_cvt_pk_bf8_f32 v51, v4, v4
	v_cvt_f32_i32_e32 v4, v57
	v_cvt_f32_i32_e32 v38, v62
	v_cvt_pk_bf8_f32 v32, v7, v7
	v_add_co_u32_e32 v34, vcc, s72, v12
	v_cvt_f32_i32_e32 v7, v56
	v_mov_b32_e32 v39, 0
	v_addc_co_u32_e32 v35, vcc, -1, v13, vcc
	v_med3_f32 v8, v8, s59, v60
	v_cvt_f32_i32_e32 v36, v37
	v_cvt_pk_bf8_f32 v39, v8, v8
	v_add_co_u32_e32 v8, vcc, 0xffffff00, v12
	v_med3_f32 v6, v6, s59, v60
	s_nop 0
	v_addc_co_u32_e32 v9, vcc, -1, v13, vcc
	v_med3_f32 v4, v4, s59, v60
	v_med3_f32 v38, v38, s59, v60
	v_mov_b32_e32 v5, 0
	v_med3_f32 v7, v7, s59, v60
	v_cvt_pk_bf8_f32 v50, v6, v6
	v_add_co_u32_e32 v6, vcc, 0xffffff40, v12
	v_cvt_pk_bf8_f32 v40, v4, v4
	v_cvt_pk_bf8_f32 v41, v38, v38
	v_cvt_f32_i32_e32 v4, v46
	v_cvt_f32_i32_e32 v38, v47
	v_mov_b32_e32 v53, 0
	v_cvt_pk_bf8_f32 v5, v7, v7
	v_addc_co_u32_e32 v7, vcc, -1, v13, vcc
	v_med3_f32 v36, v36, s59, v60
	v_cvt_pk_bf8_f32 v53, v36, v36
	v_add_co_u32_e32 v36, vcc, 0xffffff80, v12
	v_accvgpr_read_b32 v2, a52
	s_nop 0
	v_addc_co_u32_e32 v37, vcc, -1, v13, vcc
	v_accvgpr_read_b32 v3, a53
	v_add_co_u32_e32 v44, vcc, 0xffffffc0, v12
	v_med3_f32 v4, v4, s59, v60
	v_med3_f32 v38, v38, s59, v60
	v_lshl_add_u64 v[58:59], v[58:59], 0, v[2:3]
	v_lshl_add_u64 v[10:11], v[10:11], 0, v[2:3]
	s_or_b64 s[40:41], s[14:15], s[40:41]
	v_addc_co_u32_e32 v45, vcc, -1, v13, vcc
	v_cvt_pk_bf8_f32 v42, v4, v4
	v_cvt_pk_bf8_f32 v43, v38, v38
	flat_store_byte v[14:15], v52 nt
	flat_store_byte v[16:17], v54 nt
	;; [unrolled: 1-line block ×16, first 2 shown]
	v_lshl_add_u64 v[12:13], v[12:13], 0, v[2:3]
	s_andn2_b64 exec, exec, s[40:41]
	s_cbranch_execnz .LBB4_311
; %bb.312:                              ;   in Loop: Header=BB4_226 Depth=1
	s_or_b64 exec, exec, s[40:41]
	v_accvgpr_read_b32 v25, a7
	v_accvgpr_read_b32 v59, a9
	;; [unrolled: 1-line block ×44, first 2 shown]
.LBB4_313:                              ;   in Loop: Header=BB4_226 Depth=1
	s_or_b64 exec, exec, s[38:39]
	v_lshlrev_b32_e32 v0, 10, v6
	v_cmp_ne_u32_e32 vcc, v4, v0
	s_and_b64 exec, exec, vcc
	s_cbranch_execz .LBB4_317
; %bb.314:                              ;   in Loop: Header=BB4_226 Depth=1
	v_add_u32_e32 v1, v5, v1
	v_and_b32_e32 v1, 0xffffffc0, v1
	v_sub_u32_e32 v1, v5, v1
	v_lshlrev_b32_e32 v2, 6, v3
	v_sub_u32_e32 v1, v1, v2
	v_add_u32_e32 v0, v0, v1
	v_sub_u32_e32 v4, v4, v0
	v_cmp_lt_i32_e32 vcc, 0, v4
	s_and_b64 exec, exec, vcc
	s_cbranch_execz .LBB4_317
; %bb.315:                              ;   in Loop: Header=BB4_226 Depth=1
	s_trap 2
	ds_read_b128 v[6:9], v0
	ds_read_b64 v[10:11], v0
	v_add_u32_e32 v12, v0, v37
	v_ashrrev_i32_e32 v13, 31, v12
	s_mov_b64 s[14:15], 0
	s_waitcnt lgkmcnt(0)
	v_lshl_add_u64 v[0:1], v[6:7], 0, v[12:13]
	v_lshl_add_u64 v[2:3], v[8:9], 0, v[12:13]
	;; [unrolled: 1-line block ×3, first 2 shown]
	v_accvgpr_read_b32 v12, a38
	v_accvgpr_read_b32 v13, a39
.LBB4_316:                              ;   Parent Loop BB4_226 Depth=1
                                        ; =>  This Inner Loop Header: Depth=2
	s_trap 2
	flat_load_ubyte v5, v[0:1] nt
	flat_load_ubyte v6, v[2:3] nt
	ds_read_b32 v7, v0
	v_mov_b32_e32 v8, 0
	v_sub_u32_e32 v4, v4, v30
	v_lshl_add_u64 v[0:1], v[0:1], 0, v[30:31]
	v_lshl_add_u64 v[2:3], v[2:3], 0, v[30:31]
	s_waitcnt lgkmcnt(0)
	v_and_b32_e32 v7, 0xff, v7
	v_cvt_f32_bf8_sdwa v7, v7 src0_sel:BYTE_0
	s_waitcnt vmcnt(0)
	v_cvt_f32_bf8_sdwa v5, v5 src0_sel:BYTE_0
	s_nop 0
	v_mul_f32_e32 v5, v7, v5
	v_med3_f32 v7, v5, s59, v60
	v_cmp_nlg_f32_e64 vcc, |v5|, s58
	s_nop 1
	v_cndmask_b32_e32 v5, v7, v5, vcc
	v_cvt_pk_bf8_f32 v8, v5, v5
	v_cvt_pk_f32_bf8_e32 v[6:7], v6
	v_cmp_gt_i32_e32 vcc, 1, v4
	s_or_b64 s[14:15], vcc, s[14:15]
	v_and_b32_e32 v5, 0xff, v8
	v_cvt_pk_f32_bf8_e32 v[8:9], v5
	v_mov_b32_e32 v5, 0
	;;#ASMSTART
	v_pk_add_f32 v[6:7], v[8:9], v[6:7]
	;;#ASMEND
	s_nop 0
	v_cvt_pk_bf8_f32 v5, v6, v6
	v_mov_b32_e32 v6, 0
	v_cvt_f32_i32_e32 v5, v5
	v_med3_f32 v5, v5, s59, v60
	v_cvt_pk_bf8_f32 v6, v5, v5
	flat_store_byte v[10:11], v6 nt
	v_lshl_add_u64 v[10:11], v[10:11], 0, v[30:31]
	s_andn2_b64 exec, exec, s[14:15]
	s_cbranch_execnz .LBB4_316
.LBB4_317:                              ;   in Loop: Header=BB4_226 Depth=1
	s_or_b64 exec, exec, s[36:37]
	v_cmp_ne_u32_e64 s[14:15], 0, v14
.LBB4_318:                              ;   in Loop: Header=BB4_226 Depth=1
	s_and_saveexec_b64 s[36:37], s[4:5]
	s_cbranch_execz .LBB4_337
; %bb.319:                              ;   in Loop: Header=BB4_226 Depth=1
	s_and_saveexec_b64 vcc, s[22:23]
	s_xor_b64 s[38:39], exec, vcc
	s_cbranch_execz .LBB4_334
; %bb.320:                              ;   in Loop: Header=BB4_226 Depth=1
	s_and_saveexec_b64 s[40:41], s[6:7]
	s_cbranch_execz .LBB4_333
; %bb.321:                              ;   in Loop: Header=BB4_226 Depth=1
	s_mov_b64 s[46:47], exec
	v_mbcnt_lo_u32_b32 v0, s46, 0
	v_mbcnt_hi_u32_b32 v0, s47, v0
	v_cmp_eq_u32_e32 vcc, 0, v0
	s_waitcnt lgkmcnt(0)
	s_and_saveexec_b64 s[42:43], vcc
	s_cbranch_execz .LBB4_323
; %bb.322:                              ;   in Loop: Header=BB4_226 Depth=1
	s_bcnt1_i32_b64 vcc_lo, s[46:47]
	v_mov_b32_e32 v14, vcc_lo
	ds_add_u64 v0, v[14:15]
	s_trap 2
.LBB4_323:                              ;   in Loop: Header=BB4_226 Depth=1
	s_or_b64 exec, exec, s[42:43]
	s_trap 2
	ds_read_b64 v[0:1], v0
	v_lshl_add_u64 v[16:17], v[16:17], 0, v[46:47]
	s_waitcnt lgkmcnt(0)
	v_cmp_lt_u64_e32 vcc, v[0:1], v[16:17]
	s_and_saveexec_b64 s[42:43], vcc
	s_cbranch_execz .LBB4_332
; %bb.324:                              ;   in Loop: Header=BB4_226 Depth=1
	s_mov_b32 s73, 0
	s_mov_b64 s[46:47], 0
                                        ; implicit-def: $sgpr48_sgpr49
                                        ; implicit-def: $sgpr50_sgpr51
	s_branch .LBB4_326
.LBB4_325:                              ;   in Loop: Header=BB4_326 Depth=2
	s_or_b64 exec, exec, s[54:55]
	s_and_b64 vcc, exec, vcc
	s_or_b64 s[46:47], vcc, s[46:47]
	s_andn2_b64 vcc, s[48:49], exec
	s_and_b64 s[48:49], s[50:51], exec
	s_or_b64 s[48:49], vcc, s[48:49]
	s_andn2_b64 exec, exec, s[46:47]
	s_cbranch_execz .LBB4_330
.LBB4_326:                              ;   Parent Loop BB4_226 Depth=1
                                        ; =>  This Inner Loop Header: Depth=2
	s_add_i32 s73, s73, 1
	s_cmpk_lg_i32 s73, 0x2710
	s_cselect_b64 s[52:53], -1, 0
	s_and_b64 vcc, exec, s[52:53]
                                        ; implicit-def: $sgpr54_sgpr55
	s_cbranch_vccnz .LBB4_328
; %bb.327:                              ;   in Loop: Header=BB4_326 Depth=2
	s_trap 2
	ds_read_b64 v[0:1], v0
	s_andn2_b64 s[52:53], s[52:53], exec
	s_mov_b32 s73, 0
	s_mov_b64 s[54:55], -1
	s_waitcnt vmcnt(0) lgkmcnt(0)
	flat_load_dword v0, v[0:1] sc0 sc1
	s_waitcnt vmcnt(0) lgkmcnt(0)
	buffer_inv sc0 sc1
	v_cmp_eq_u32_e32 vcc, 0, v0
	s_and_b64 vcc, vcc, exec
	s_or_b64 s[52:53], s[52:53], vcc
.LBB4_328:                              ;   in Loop: Header=BB4_326 Depth=2
	s_andn2_b64 s[50:51], s[50:51], exec
	s_and_b64 s[54:55], s[54:55], exec
	s_mov_b64 vcc, -1
	s_or_b64 s[50:51], s[50:51], s[54:55]
	s_and_saveexec_b64 s[54:55], s[52:53]
	s_cbranch_execz .LBB4_325
; %bb.329:                              ;   in Loop: Header=BB4_326 Depth=2
	s_sleep 1
	s_trap 2
	ds_read_b64 v[0:1], v0
	s_andn2_b64 s[50:51], s[50:51], exec
	s_waitcnt lgkmcnt(0)
	v_cmp_ge_u64_e32 vcc, v[0:1], v[16:17]
	s_orn2_b64 vcc, vcc, exec
	s_branch .LBB4_325
.LBB4_330:                              ;   in Loop: Header=BB4_226 Depth=1
	s_or_b64 exec, exec, s[46:47]
	s_and_saveexec_b64 vcc, s[48:49]
	s_xor_b64 vcc, exec, vcc
	s_cbranch_execz .LBB4_332
; %bb.331:                              ;   in Loop: Header=BB4_226 Depth=1
	v_mov_b32_e32 v0, 1
	ds_write_b32 v0, v0
	s_trap 2
.LBB4_332:                              ;   in Loop: Header=BB4_226 Depth=1
	s_or_b64 exec, exec, s[42:43]
	;;#ASMSTART
	s_wakeup
	;;#ASMEND
.LBB4_333:                              ;   in Loop: Header=BB4_226 Depth=1
	s_or_b64 exec, exec, s[40:41]
.LBB4_334:                              ;   in Loop: Header=BB4_226 Depth=1
	s_andn2_saveexec_b64 vcc, s[38:39]
	s_cbranch_execz .LBB4_336
; %bb.335:                              ;   in Loop: Header=BB4_226 Depth=1
	s_waitcnt lgkmcnt(0)
	s_barrier
.LBB4_336:                              ;   in Loop: Header=BB4_226 Depth=1
	s_or_b64 exec, exec, vcc
.LBB4_337:                              ;   in Loop: Header=BB4_226 Depth=1
	s_or_b64 exec, exec, s[36:37]
	v_and_b32_e32 v0, 16, v62
	v_cmp_ne_u32_e32 vcc, 0, v0
	s_and_b64 vcc, vcc, s[14:15]
	s_and_saveexec_b64 s[14:15], vcc
	s_cbranch_execz .LBB4_339
; %bb.338:                              ;   in Loop: Header=BB4_226 Depth=1
	buffer_wbl2 sc1
	s_waitcnt vmcnt(0) lgkmcnt(0)
	buffer_inv sc1
.LBB4_339:                              ;   in Loop: Header=BB4_226 Depth=1
	s_or_b64 exec, exec, s[14:15]
	v_and_b32_e32 v0, 32, v62
	v_cmp_ne_u32_e32 vcc, 0, v0
	s_and_saveexec_b64 s[14:15], vcc
	s_cbranch_execz .LBB4_341
; %bb.340:                              ;   in Loop: Header=BB4_226 Depth=1
	v_lshl_add_u64 v[34:35], v[34:35], 0, 1
	flat_store_dwordx2 v[28:29], v[34:35] sc0 sc1
.LBB4_341:                              ;   in Loop: Header=BB4_226 Depth=1
	s_or_b64 exec, exec, s[14:15]
	v_mov_b32_e32 v6, v23
.LBB4_342:                              ;   in Loop: Header=BB4_226 Depth=1
	s_or_b64 exec, exec, s[34:35]
	s_and_saveexec_b64 s[34:35], s[30:31]
	s_cbranch_execz .LBB4_225
; %bb.343:                              ;   in Loop: Header=BB4_226 Depth=1
	v_and_b32_e32 v0, 4, v62
	v_cmp_ne_u32_e32 vcc, 0, v0
	s_mov_b64 s[30:31], -1
	v_lshl_add_u64 v[2:3], v[34:35], 0, 1
	s_and_saveexec_b64 s[14:15], vcc
	s_cbranch_execnz .LBB4_346
; %bb.344:                              ;   in Loop: Header=BB4_226 Depth=1
	s_or_b64 exec, exec, s[14:15]
	s_xor_b64 s[14:15], s[30:31], -1
	s_and_saveexec_b64 s[30:31], s[14:15]
	s_cbranch_execnz .LBB4_357
.LBB4_345:                              ;   in Loop: Header=BB4_226 Depth=1
	s_or_b64 exec, exec, s[30:31]
	s_and_saveexec_b64 s[14:15], s[4:5]
	s_cbranch_execnz .LBB4_366
	s_branch .LBB4_384
.LBB4_346:                              ;   in Loop: Header=BB4_226 Depth=1
	v_lshl_add_u64 v[0:1], v[34:35], 0, 1
	v_cmp_lt_u64_e32 vcc, v[50:51], v[0:1]
	v_mov_b32_e32 v4, 1
	s_and_saveexec_b64 s[30:31], vcc
	s_cbranch_execz .LBB4_356
; %bb.347:                              ;   in Loop: Header=BB4_226 Depth=1
	s_mov_b64 s[36:37], 0
	v_mov_b32_e32 v4, 0
                                        ; implicit-def: $sgpr38_sgpr39
	s_branch .LBB4_351
.LBB4_348:                              ;   in Loop: Header=BB4_351 Depth=2
	s_or_b64 exec, exec, s[48:49]
	v_mov_b32_e32 v5, 0
	s_orn2_b64 s[46:47], s[46:47], exec
.LBB4_349:                              ;   in Loop: Header=BB4_351 Depth=2
	s_or_b64 exec, exec, s[42:43]
	s_andn2_b64 vcc, s[38:39], exec
	s_and_b64 s[38:39], s[46:47], exec
	s_or_b64 s[38:39], vcc, s[38:39]
	v_mov_b32_e32 v4, v5
.LBB4_350:                              ;   in Loop: Header=BB4_351 Depth=2
	s_or_b64 exec, exec, s[40:41]
	s_waitcnt vmcnt(0) lgkmcnt(0)
	v_cmp_ge_u64_e32 vcc, v[50:51], v[0:1]
	s_xor_b64 s[40:41], s[38:39], -1
	s_or_b64 vcc, s[40:41], vcc
	s_and_b64 vcc, exec, vcc
	s_or_b64 s[36:37], vcc, s[36:37]
	s_andn2_b64 exec, exec, s[36:37]
	s_cbranch_execz .LBB4_355
.LBB4_351:                              ;   Parent Loop BB4_226 Depth=1
                                        ; =>  This Inner Loop Header: Depth=2
	s_sleep 1
	flat_load_dwordx2 v[50:51], v[28:29] sc0 sc1
	v_and_b32_e32 v5, 64, v62
	v_cmp_eq_u32_e32 vcc, 0, v5
	s_andn2_b64 s[38:39], s[38:39], exec
	s_and_saveexec_b64 s[40:41], vcc
	s_cbranch_execz .LBB4_350
; %bb.352:                              ;   in Loop: Header=BB4_351 Depth=2
	v_add_u32_e32 v5, 1, v4
	v_cmp_lt_i32_e32 vcc, s57, v4
	s_mov_b64 s[46:47], -1
	s_and_saveexec_b64 s[42:43], vcc
	s_cbranch_execz .LBB4_349
; %bb.353:                              ;   in Loop: Header=BB4_351 Depth=2
	s_trap 2
	ds_read_b64 v[4:5], v0
	s_waitcnt vmcnt(0) lgkmcnt(0)
	flat_load_dword v4, v[4:5] sc0 sc1
	s_waitcnt vmcnt(0) lgkmcnt(0)
	buffer_inv sc0 sc1
	v_cmp_ne_u32_e32 vcc, 0, v4
	s_and_saveexec_b64 s[48:49], vcc
	s_cbranch_execz .LBB4_348
; %bb.354:                              ;   in Loop: Header=BB4_351 Depth=2
	v_or_b32_e32 v62, 64, v62
	s_xor_b64 s[46:47], exec, -1
	ds_write_b32 v0, v4
	s_trap 2
	s_branch .LBB4_348
.LBB4_355:                              ;   in Loop: Header=BB4_226 Depth=1
	s_or_b64 exec, exec, s[36:37]
	v_and_b32_e32 v4, 4, v62
.LBB4_356:                              ;   in Loop: Header=BB4_226 Depth=1
	s_or_b64 exec, exec, s[30:31]
	v_cmp_eq_u32_e32 vcc, 0, v4
	s_orn2_b64 s[30:31], vcc, exec
	;;#ASMSTART
	s_wakeup
	;;#ASMEND
	s_or_b64 exec, exec, s[14:15]
	s_xor_b64 s[14:15], s[30:31], -1
	s_and_saveexec_b64 s[30:31], s[14:15]
	s_cbranch_execz .LBB4_345
.LBB4_357:                              ;   in Loop: Header=BB4_226 Depth=1
	v_and_b32_e32 v0, 0x100, v62
	v_cmp_ne_u32_e32 vcc, 0, v0
	v_and_b32_e32 v4, 7, v34
	s_mov_b64 s[14:15], -1
                                        ; implicit-def: $vgpr0_vgpr1
	s_and_saveexec_b64 s[36:37], vcc
	s_cbranch_execz .LBB4_361
; %bb.358:                              ;   in Loop: Header=BB4_226 Depth=1
	v_mad_u64_u32 v[8:9], s[14:15], v4, 24, v[32:33]
	flat_load_dword v0, v[8:9]
	s_waitcnt vmcnt(0) lgkmcnt(0)
	v_cmp_ne_u32_e32 vcc, 1, v0
	v_cmp_eq_u32_e64 s[14:15], 1, v0
                                        ; implicit-def: $vgpr0_vgpr1
	s_and_saveexec_b64 s[38:39], s[14:15]
	s_cbranch_execz .LBB4_360
; %bb.359:                              ;   in Loop: Header=BB4_226 Depth=1
	flat_load_dword v0, v[8:9] offset:4 sc0 sc1
	s_waitcnt vmcnt(0) lgkmcnt(0)
	v_ashrrev_i32_e32 v1, 31, v0
.LBB4_360:                              ;   in Loop: Header=BB4_226 Depth=1
	s_or_b64 exec, exec, s[38:39]
	s_orn2_b64 s[14:15], vcc, exec
.LBB4_361:                              ;   in Loop: Header=BB4_226 Depth=1
	s_or_b64 exec, exec, s[36:37]
	s_and_saveexec_b64 vcc, s[14:15]
; %bb.362:                              ;   in Loop: Header=BB4_226 Depth=1
	v_mad_i64_i32 v[0:1], s[14:15], v4, v36, 0
; %bb.363:                              ;   in Loop: Header=BB4_226 Depth=1
	s_or_b64 exec, exec, vcc
	v_lshl_add_u64 v[0:1], v[48:49], 0, v[0:1]
	ds_write_b64 v0, v[0:1] offset:728
	v_and_b32_e32 v0, 0x2000, v62
	v_cmp_ne_u32_e32 vcc, 0, v0
	s_and_saveexec_b64 s[14:15], vcc
	s_cbranch_execz .LBB4_365
; %bb.364:                              ;   in Loop: Header=BB4_226 Depth=1
	ds_read_b64 v[0:1], v0 offset:584
	s_waitcnt lgkmcnt(0)
	v_lshl_add_u64 v[0:1], v[0:1], 0, 1
	ds_write_b64 v0, v[0:1] offset:584
.LBB4_365:                              ;   in Loop: Header=BB4_226 Depth=1
	s_or_b64 exec, exec, s[14:15]
	v_mov_b64_e32 v[34:35], v[2:3]
	s_or_b64 exec, exec, s[30:31]
	s_and_saveexec_b64 s[14:15], s[4:5]
	s_cbranch_execz .LBB4_384
.LBB4_366:                              ;   in Loop: Header=BB4_226 Depth=1
	s_and_saveexec_b64 vcc, s[22:23]
	s_xor_b64 s[30:31], exec, vcc
	s_cbranch_execz .LBB4_381
; %bb.367:                              ;   in Loop: Header=BB4_226 Depth=1
	s_and_saveexec_b64 s[36:37], s[6:7]
	s_cbranch_execz .LBB4_380
; %bb.368:                              ;   in Loop: Header=BB4_226 Depth=1
	s_mov_b64 s[40:41], exec
	v_mbcnt_lo_u32_b32 v0, s40, 0
	v_mbcnt_hi_u32_b32 v0, s41, v0
	v_cmp_eq_u32_e32 vcc, 0, v0
	s_waitcnt lgkmcnt(0)
	s_and_saveexec_b64 s[38:39], vcc
	s_cbranch_execz .LBB4_370
; %bb.369:                              ;   in Loop: Header=BB4_226 Depth=1
	s_bcnt1_i32_b64 vcc_lo, s[40:41]
	v_mov_b32_e32 v14, vcc_lo
	ds_add_u64 v0, v[14:15]
	s_trap 2
.LBB4_370:                              ;   in Loop: Header=BB4_226 Depth=1
	s_or_b64 exec, exec, s[38:39]
	s_trap 2
	ds_read_b64 v[0:1], v0
	v_lshl_add_u64 v[16:17], v[16:17], 0, v[46:47]
	s_waitcnt lgkmcnt(0)
	v_cmp_lt_u64_e32 vcc, v[0:1], v[16:17]
	s_and_saveexec_b64 s[38:39], vcc
	s_cbranch_execz .LBB4_379
; %bb.371:                              ;   in Loop: Header=BB4_226 Depth=1
	s_mov_b32 s52, 0
	s_mov_b64 s[40:41], 0
                                        ; implicit-def: $sgpr42_sgpr43
                                        ; implicit-def: $sgpr46_sgpr47
	s_branch .LBB4_373
.LBB4_372:                              ;   in Loop: Header=BB4_373 Depth=2
	s_or_b64 exec, exec, s[50:51]
	s_and_b64 vcc, exec, vcc
	s_or_b64 s[40:41], vcc, s[40:41]
	s_andn2_b64 vcc, s[42:43], exec
	s_and_b64 s[42:43], s[46:47], exec
	s_or_b64 s[42:43], vcc, s[42:43]
	s_andn2_b64 exec, exec, s[40:41]
	s_cbranch_execz .LBB4_377
.LBB4_373:                              ;   Parent Loop BB4_226 Depth=1
                                        ; =>  This Inner Loop Header: Depth=2
	s_add_i32 s52, s52, 1
	s_cmpk_lg_i32 s52, 0x2710
	s_cselect_b64 s[48:49], -1, 0
	s_and_b64 vcc, exec, s[48:49]
                                        ; implicit-def: $sgpr50_sgpr51
	s_cbranch_vccnz .LBB4_375
; %bb.374:                              ;   in Loop: Header=BB4_373 Depth=2
	s_trap 2
	ds_read_b64 v[0:1], v0
	s_andn2_b64 s[48:49], s[48:49], exec
	s_mov_b32 s52, 0
	s_mov_b64 s[50:51], -1
	s_waitcnt vmcnt(0) lgkmcnt(0)
	flat_load_dword v0, v[0:1] sc0 sc1
	s_waitcnt vmcnt(0) lgkmcnt(0)
	buffer_inv sc0 sc1
	v_cmp_eq_u32_e32 vcc, 0, v0
	s_and_b64 vcc, vcc, exec
	s_or_b64 s[48:49], s[48:49], vcc
.LBB4_375:                              ;   in Loop: Header=BB4_373 Depth=2
	s_andn2_b64 s[46:47], s[46:47], exec
	s_and_b64 s[50:51], s[50:51], exec
	s_mov_b64 vcc, -1
	s_or_b64 s[46:47], s[46:47], s[50:51]
	s_and_saveexec_b64 s[50:51], s[48:49]
	s_cbranch_execz .LBB4_372
; %bb.376:                              ;   in Loop: Header=BB4_373 Depth=2
	s_sleep 1
	s_trap 2
	ds_read_b64 v[0:1], v0
	s_andn2_b64 s[46:47], s[46:47], exec
	s_waitcnt lgkmcnt(0)
	v_cmp_ge_u64_e32 vcc, v[0:1], v[16:17]
	s_orn2_b64 vcc, vcc, exec
	s_branch .LBB4_372
.LBB4_377:                              ;   in Loop: Header=BB4_226 Depth=1
	s_or_b64 exec, exec, s[40:41]
	s_and_saveexec_b64 vcc, s[42:43]
	s_xor_b64 vcc, exec, vcc
	s_cbranch_execz .LBB4_379
; %bb.378:                              ;   in Loop: Header=BB4_226 Depth=1
	v_mov_b32_e32 v0, 1
	ds_write_b32 v0, v0
	s_trap 2
.LBB4_379:                              ;   in Loop: Header=BB4_226 Depth=1
	s_or_b64 exec, exec, s[38:39]
	;;#ASMSTART
	s_wakeup
	;;#ASMEND
.LBB4_380:                              ;   in Loop: Header=BB4_226 Depth=1
	s_or_b64 exec, exec, s[36:37]
.LBB4_381:                              ;   in Loop: Header=BB4_226 Depth=1
	s_andn2_saveexec_b64 vcc, s[30:31]
	s_cbranch_execz .LBB4_383
; %bb.382:                              ;   in Loop: Header=BB4_226 Depth=1
	s_waitcnt lgkmcnt(0)
	s_barrier
.LBB4_383:                              ;   in Loop: Header=BB4_226 Depth=1
	s_or_b64 exec, exec, vcc
.LBB4_384:                              ;   in Loop: Header=BB4_226 Depth=1
	s_or_b64 exec, exec, s[14:15]
	s_trap 2
	ds_read_b32 v0, v0
	v_sub_u32_e32 v1, v54, v6
	v_min_i32_e32 v1, v23, v1
	v_cmp_lt_i32_e32 vcc, 0, v1
	s_waitcnt lgkmcnt(0)
	v_readfirstlane_b32 s14, v0
	s_cmp_eq_u32 s14, 0
	s_cselect_b64 s[14:15], -1, 0
	v_and_b32_e32 v0, 16, v62
	s_and_b64 s[14:15], vcc, s[14:15]
	v_cmp_ne_u32_e32 vcc, 0, v0
	s_and_b64 vcc, vcc, s[14:15]
	s_and_saveexec_b64 s[14:15], vcc
	s_cbranch_execz .LBB4_386
; %bb.385:                              ;   in Loop: Header=BB4_226 Depth=1
	buffer_wbl2 sc1
	s_waitcnt vmcnt(0)
	buffer_inv sc1
.LBB4_386:                              ;   in Loop: Header=BB4_226 Depth=1
	s_or_b64 exec, exec, s[14:15]
	v_and_b32_e32 v0, 32, v62
	v_cmp_ne_u32_e32 vcc, 0, v0
	s_and_saveexec_b64 s[14:15], vcc
	s_cbranch_execz .LBB4_224
; %bb.387:                              ;   in Loop: Header=BB4_226 Depth=1
	v_lshl_add_u64 v[34:35], v[34:35], 0, 1
	flat_store_dwordx2 v[28:29], v[34:35] sc0 sc1
	s_branch .LBB4_224
.LBB4_388:
	s_or_b64 exec, exec, s[24:25]
.LBB4_389:
	s_or_b64 exec, exec, s[18:19]
.LBB4_390:
	s_or_b64 exec, exec, s[16:17]
                                        ; implicit-def: $vgpr58_vgpr59
                                        ; implicit-def: $vgpr24_vgpr25
                                        ; implicit-def: $vgpr52_vgpr53
                                        ; implicit-def: $vgpr36
                                        ; implicit-def: $vgpr50_vgpr51
                                        ; implicit-def: $vgpr48_vgpr49
                                        ; implicit-def: $vgpr28_vgpr29
                                        ; implicit-def: $vgpr61
                                        ; implicit-def: $vgpr0
                                        ; implicit-def: $vgpr18_vgpr19
.LBB4_391:
	s_andn2_saveexec_b64 s[46:47], s[20:21]
	s_cbranch_execz .LBB4_564
; %bb.392:
	s_mov_b64 s[50:51], 0
	v_cmp_ne_u64_e32 vcc, 0, v[24:25]
	v_mov_b64_e32 v[16:17], 0
	s_and_saveexec_b64 s[48:49], vcc
	s_cbranch_execz .LBB4_563
; %bb.393:
	s_waitcnt vmcnt(0)
	v_accvgpr_read_b32 v1, a2
	v_cmp_ne_u32_sdwa s[52:53], v1, v22 src0_sel:WORD_0 src1_sel:DWORD
	v_accvgpr_read_b32 v1, a1
	v_and_b32_e32 v1, 63, v1
	v_cmp_eq_u32_e64 s[6:7], 0, v1
	v_ashrrev_i32_e32 v1, 31, v61
	v_lshrrev_b32_e32 v1, 26, v1
	v_add_u32_e32 v1, v61, v1
	v_and_b32_e32 v2, 0xffffffc0, v1
	v_sub_u32_e32 v2, v61, v2
	v_ashrrev_i32_e32 v60, 6, v1
	v_cmp_lt_i32_e64 s[12:13], v2, v0
	v_lshlrev_b32_e32 v0, 12, v60
	v_lshrrev_b32_e32 v56, 6, v22
	v_lshl_add_u32 v14, v2, 4, v0
	v_mov_b32_e32 v0, 0xfffff000
	v_lshl_add_u32 v0, v56, 12, v0
	s_ashr_i32 s2, s60, 31
	v_ashrrev_i32_e32 v1, 31, v0
	s_mov_b64 s[14:15], 0x1000
	v_lshlrev_b32_e32 v27, 10, v56
	s_lshr_b32 s2, s2, 24
	v_lshl_add_u64 v[20:21], v[0:1], 0, s[14:15]
	v_add_u32_e32 v0, 0xfffffc00, v27
	s_add_i32 s60, s60, s2
	v_cmp_ge_i32_e64 s[2:3], v61, v22
	v_cmp_eq_u32_e32 vcc, 64, v22
	v_cmp_ne_u32_e64 s[4:5], 64, v22
	v_ashrrev_i32_e32 v1, 31, v0
	s_mov_b64 s[14:15], 0x400
	v_and_b32_e32 v22, 0xffffffc0, v22
	v_mov_b32_e32 v13, 0
	v_lshl_add_u64 v[38:39], v[0:1], 0, s[14:15]
	v_ashrrev_i32_e32 v23, 31, v22
	v_mov_b32_e32 v57, v13
	v_mov_b64_e32 v[54:55], 0
	v_accvgpr_write_b32 a6, v24
	v_accvgpr_write_b32 a8, v58
	s_waitcnt lgkmcnt(0)
	v_accvgpr_write_b32 a18, v28
	v_accvgpr_write_b32 a22, v48
	;; [unrolled: 1-line block ×7, first 2 shown]
	s_ashr_i32 s66, s60, 8
	v_cmp_gt_i32_e64 s[10:11], 1, v2
	v_accvgpr_write_b32 a21, v2
	v_ashrrev_i32_e32 v15, 31, v14
	v_cmp_ne_u64_e64 s[14:15], 0, v[52:53]
	s_movk_i32 s67, 0x270e
	v_mov_b32_e32 v26, 1
	s_xor_b64 s[54:55], vcc, -1
	s_mov_b32 s68, 0x7f800000
	s_mov_b32 s69, 0x47600000
	;; [unrolled: 1-line block ×3, first 2 shown]
	v_mov_b32_e32 v30, 0xc7600000
	v_mov_b64_e32 v[16:17], v[54:55]
	v_accvgpr_write_b32 a7, v25
	v_accvgpr_write_b32 a9, v59
	v_accvgpr_write_b32 a19, v29
	v_accvgpr_write_b32 a20, v36
	v_accvgpr_write_b32 a23, v49
	v_accvgpr_write_b32 a28, v18
	v_accvgpr_write_b32 a31, v53
	v_accvgpr_write_b32 a33, v57
	v_accvgpr_write_b32 a36, v60
	v_accvgpr_write_b32 a37, v27
	v_accvgpr_write_b32 a39, v39
	v_accvgpr_write_b32 a40, v22
	s_trap 2
	scratch_store_dwordx2 off, v[14:15], s33 offset:176 ; 8-byte Folded Spill
	s_branch .LBB4_397
.LBB4_394:                              ;   in Loop: Header=BB4_397 Depth=1
	s_or_b64 exec, exec, s[20:21]
	v_lshl_add_u64 v[34:35], v[34:35], 0, 1
	flat_store_dwordx2 v[28:29], v[34:35] sc0 sc1
.LBB4_395:                              ;   in Loop: Header=BB4_397 Depth=1
	s_or_b64 exec, exec, s[16:17]
.LBB4_396:                              ;   in Loop: Header=BB4_397 Depth=1
	s_or_b64 exec, exec, s[18:19]
	v_lshl_add_u64 v[54:55], v[54:55], 0, v[18:19]
	v_cmp_ge_u64_e32 vcc, v[54:55], v[24:25]
	s_or_b64 s[50:51], vcc, s[50:51]
	s_andn2_b64 exec, exec, s[50:51]
	s_cbranch_execz .LBB4_562
.LBB4_397:                              ; =>This Loop Header: Depth=1
                                        ;     Child Loop BB4_406 Depth 2
                                        ;     Child Loop BB4_430 Depth 2
	;; [unrolled: 1-line block ×10, first 2 shown]
	v_sub_co_u32_e32 v0, vcc, v24, v54
	v_mov_b32_e32 v2, 0
	s_nop 0
	v_subb_co_u32_e32 v1, vcc, v25, v55, vcc
	v_cmp_lt_u64_e32 vcc, v[18:19], v[0:1]
	s_nop 1
	v_cndmask_b32_e64 v41, v1, 0, vcc
	v_cndmask_b32_e32 v40, v0, v18, vcc
	v_add_u32_e32 v0, 15, v40
	v_cmp_eq_u64_e32 vcc, 0, v[40:41]
	v_and_b32_e32 v0, 0x7ffffff0, v0
	s_or_b64 s[56:57], s[2:3], vcc
	v_max_i32_e32 v12, s66, v0
	s_xor_b64 s[16:17], s[56:57], -1
	s_and_saveexec_b64 s[58:59], s[16:17]
	s_cbranch_execz .LBB4_515
; %bb.398:                              ;   in Loop: Header=BB4_397 Depth=1
	s_and_saveexec_b64 s[16:17], s[0:1]
	s_cbranch_execz .LBB4_400
; %bb.399:                              ;   in Loop: Header=BB4_397 Depth=1
	s_trap 2
	ds_read_b64 v[0:1], v0
	v_mov_b32_e32 v2, v13
	v_mov_b32_e32 v3, v13
	s_waitcnt lgkmcnt(0)
	v_lshl_add_u64 v[0:1], v[0:1], 0, v[58:59]
	v_lshl_add_u64 v[0:1], v[0:1], 0, v[54:55]
	ds_write_b64 v0, v[0:1]
	ds_write_b64 v0, v[2:3]
.LBB4_400:                              ;   in Loop: Header=BB4_397 Depth=1
	s_or_b64 exec, exec, s[16:17]
	v_and_b32_e32 v0, 8, v62
	v_cmp_ne_u32_e32 vcc, 0, v0
	s_mov_b64 s[18:19], -1
	v_lshl_add_u64 v[2:3], v[34:35], 0, 1
	s_and_saveexec_b64 s[16:17], vcc
	s_cbranch_execz .LBB4_412
; %bb.401:                              ;   in Loop: Header=BB4_397 Depth=1
	v_lshl_add_u64 v[4:5], v[50:51], 0, 8
	v_lshl_add_u64 v[0:1], v[34:35], 0, 1
	v_cmp_lt_u64_e32 vcc, v[4:5], v[0:1]
	v_mov_b32_e32 v4, 1
	s_and_saveexec_b64 s[18:19], vcc
	s_cbranch_execz .LBB4_411
; %bb.402:                              ;   in Loop: Header=BB4_397 Depth=1
	s_mov_b64 s[20:21], 0
	v_mov_b32_e32 v4, 0
                                        ; implicit-def: $sgpr22_sgpr23
	s_branch .LBB4_406
.LBB4_403:                              ;   in Loop: Header=BB4_406 Depth=2
	s_or_b64 exec, exec, s[30:31]
	v_mov_b32_e32 v5, 0
	s_orn2_b64 s[28:29], s[28:29], exec
.LBB4_404:                              ;   in Loop: Header=BB4_406 Depth=2
	s_or_b64 exec, exec, s[26:27]
	s_andn2_b64 s[22:23], s[22:23], exec
	s_and_b64 s[26:27], s[28:29], exec
	s_or_b64 s[22:23], s[22:23], s[26:27]
	v_mov_b32_e32 v4, v5
.LBB4_405:                              ;   in Loop: Header=BB4_406 Depth=2
	s_or_b64 exec, exec, s[24:25]
	s_waitcnt vmcnt(0) lgkmcnt(0)
	v_lshl_add_u64 v[6:7], v[50:51], 0, 8
	v_cmp_ge_u64_e32 vcc, v[6:7], v[0:1]
	s_xor_b64 s[24:25], s[22:23], -1
	s_or_b64 s[24:25], s[24:25], vcc
	s_and_b64 s[24:25], exec, s[24:25]
	s_or_b64 s[20:21], s[24:25], s[20:21]
	s_andn2_b64 exec, exec, s[20:21]
	s_cbranch_execz .LBB4_410
.LBB4_406:                              ;   Parent Loop BB4_397 Depth=1
                                        ; =>  This Inner Loop Header: Depth=2
	s_sleep 1
	flat_load_dwordx2 v[50:51], v[28:29] sc0 sc1
	v_and_b32_e32 v5, 64, v62
	v_cmp_eq_u32_e32 vcc, 0, v5
	s_andn2_b64 s[22:23], s[22:23], exec
	s_and_saveexec_b64 s[24:25], vcc
	s_cbranch_execz .LBB4_405
; %bb.407:                              ;   in Loop: Header=BB4_406 Depth=2
	v_add_u32_e32 v5, 1, v4
	v_cmp_lt_i32_e32 vcc, s67, v4
	s_mov_b64 s[28:29], -1
	s_and_saveexec_b64 s[26:27], vcc
	s_cbranch_execz .LBB4_404
; %bb.408:                              ;   in Loop: Header=BB4_406 Depth=2
	s_trap 2
	ds_read_b64 v[4:5], v0
	s_waitcnt vmcnt(0) lgkmcnt(0)
	flat_load_dword v4, v[4:5] sc0 sc1
	s_waitcnt vmcnt(0) lgkmcnt(0)
	buffer_inv sc0 sc1
	v_cmp_ne_u32_e32 vcc, 0, v4
	s_and_saveexec_b64 s[30:31], vcc
	s_cbranch_execz .LBB4_403
; %bb.409:                              ;   in Loop: Header=BB4_406 Depth=2
	v_or_b32_e32 v62, 64, v62
	s_xor_b64 s[28:29], exec, -1
	ds_write_b32 v0, v4
	s_trap 2
	s_branch .LBB4_403
.LBB4_410:                              ;   in Loop: Header=BB4_397 Depth=1
	s_or_b64 exec, exec, s[20:21]
	v_and_b32_e32 v4, 8, v62
.LBB4_411:                              ;   in Loop: Header=BB4_397 Depth=1
	s_or_b64 exec, exec, s[18:19]
	v_cmp_eq_u32_e32 vcc, 0, v4
	s_orn2_b64 s[18:19], vcc, exec
	;;#ASMSTART
	s_wakeup
	;;#ASMEND
.LBB4_412:                              ;   in Loop: Header=BB4_397 Depth=1
	s_or_b64 exec, exec, s[16:17]
	s_xor_b64 s[16:17], s[18:19], -1
	v_min_u32_e32 v12, v12, v40
	s_and_saveexec_b64 s[18:19], s[16:17]
	s_cbranch_execz .LBB4_422
; %bb.413:                              ;   in Loop: Header=BB4_397 Depth=1
	v_and_b32_e32 v0, 0x100, v62
	v_cmp_ne_u32_e32 vcc, 0, v0
	v_and_b32_e32 v4, 7, v34
	s_mov_b64 s[16:17], -1
                                        ; implicit-def: $vgpr0_vgpr1
	s_and_saveexec_b64 s[20:21], vcc
	s_cbranch_execz .LBB4_417
; %bb.414:                              ;   in Loop: Header=BB4_397 Depth=1
	v_mad_u64_u32 v[8:9], s[16:17], v4, 24, v[32:33]
	flat_load_dword v0, v[8:9]
	s_waitcnt vmcnt(0) lgkmcnt(0)
	v_cmp_ne_u32_e32 vcc, 1, v0
	v_cmp_eq_u32_e64 s[16:17], 1, v0
	flat_store_dwordx2 v[8:9], v[12:13] offset:8
                                        ; implicit-def: $vgpr0_vgpr1
	s_and_saveexec_b64 s[22:23], s[16:17]
	s_cbranch_execz .LBB4_416
; %bb.415:                              ;   in Loop: Header=BB4_397 Depth=1
	flat_load_dword v0, v[8:9] offset:4 sc0 sc1
	s_waitcnt vmcnt(0) lgkmcnt(0)
	v_ashrrev_i32_e32 v1, 31, v0
.LBB4_416:                              ;   in Loop: Header=BB4_397 Depth=1
	s_or_b64 exec, exec, s[22:23]
	s_orn2_b64 s[16:17], vcc, exec
.LBB4_417:                              ;   in Loop: Header=BB4_397 Depth=1
	s_or_b64 exec, exec, s[20:21]
	s_and_saveexec_b64 s[20:21], s[16:17]
; %bb.418:                              ;   in Loop: Header=BB4_397 Depth=1
	v_mad_i64_i32 v[0:1], s[16:17], v4, v36, 0
; %bb.419:                              ;   in Loop: Header=BB4_397 Depth=1
	s_or_b64 exec, exec, s[20:21]
	v_lshl_add_u64 v[0:1], v[48:49], 0, v[0:1]
	ds_write_b64 v0, v[0:1] offset:784
	v_and_b32_e32 v0, 0x2000, v62
	v_cmp_ne_u32_e32 vcc, 0, v0
	s_and_saveexec_b64 s[16:17], vcc
	s_cbranch_execz .LBB4_421
; %bb.420:                              ;   in Loop: Header=BB4_397 Depth=1
	ds_read_b64 v[0:1], v0 offset:584
	s_waitcnt lgkmcnt(0)
	v_lshl_add_u64 v[0:1], v[0:1], 0, 1
	ds_write_b64 v0, v[0:1] offset:584
.LBB4_421:                              ;   in Loop: Header=BB4_397 Depth=1
	s_or_b64 exec, exec, s[16:17]
	v_mov_b64_e32 v[34:35], v[2:3]
.LBB4_422:                              ;   in Loop: Header=BB4_397 Depth=1
	s_or_b64 exec, exec, s[18:19]
	s_and_saveexec_b64 s[16:17], s[4:5]
	s_cbranch_execz .LBB4_441
; %bb.423:                              ;   in Loop: Header=BB4_397 Depth=1
	s_and_saveexec_b64 s[18:19], s[52:53]
	s_xor_b64 s[18:19], exec, s[18:19]
	s_cbranch_execz .LBB4_438
; %bb.424:                              ;   in Loop: Header=BB4_397 Depth=1
	s_and_saveexec_b64 s[20:21], s[6:7]
	s_cbranch_execz .LBB4_437
; %bb.425:                              ;   in Loop: Header=BB4_397 Depth=1
	s_mov_b64 s[24:25], exec
	v_mbcnt_lo_u32_b32 v0, s24, 0
	v_mbcnt_hi_u32_b32 v0, s25, v0
	v_cmp_eq_u32_e32 vcc, 0, v0
	s_waitcnt lgkmcnt(0)
	s_and_saveexec_b64 s[22:23], vcc
	s_cbranch_execz .LBB4_427
; %bb.426:                              ;   in Loop: Header=BB4_397 Depth=1
	s_bcnt1_i32_b64 s24, s[24:25]
	v_mov_b32_e32 v0, s24
	v_mov_b32_e32 v1, v13
	ds_add_u64 v0, v[0:1]
	s_trap 2
.LBB4_427:                              ;   in Loop: Header=BB4_397 Depth=1
	s_or_b64 exec, exec, s[22:23]
	s_trap 2
	ds_read_b64 v[0:1], v0
	v_lshl_add_u64 v[16:17], v[16:17], 0, v[56:57]
	s_waitcnt lgkmcnt(0)
	v_cmp_lt_u64_e32 vcc, v[0:1], v[16:17]
	s_and_saveexec_b64 s[22:23], vcc
	s_cbranch_execz .LBB4_436
; %bb.428:                              ;   in Loop: Header=BB4_397 Depth=1
	s_mov_b32 s36, 0
	s_mov_b64 s[24:25], 0
                                        ; implicit-def: $sgpr26_sgpr27
                                        ; implicit-def: $sgpr28_sgpr29
	s_branch .LBB4_430
.LBB4_429:                              ;   in Loop: Header=BB4_430 Depth=2
	s_or_b64 exec, exec, s[34:35]
	s_and_b64 vcc, exec, vcc
	s_or_b64 s[24:25], vcc, s[24:25]
	s_andn2_b64 s[26:27], s[26:27], exec
	s_and_b64 vcc, s[28:29], exec
	s_or_b64 s[26:27], s[26:27], vcc
	s_andn2_b64 exec, exec, s[24:25]
	s_cbranch_execz .LBB4_434
.LBB4_430:                              ;   Parent Loop BB4_397 Depth=1
                                        ; =>  This Inner Loop Header: Depth=2
	s_add_i32 s36, s36, 1
	s_cmpk_lg_i32 s36, 0x2710
	s_cselect_b64 s[30:31], -1, 0
	s_and_b64 vcc, exec, s[30:31]
                                        ; implicit-def: $sgpr34_sgpr35
	s_cbranch_vccnz .LBB4_432
; %bb.431:                              ;   in Loop: Header=BB4_430 Depth=2
	s_trap 2
	ds_read_b64 v[0:1], v0
	s_andn2_b64 s[30:31], s[30:31], exec
	s_mov_b32 s36, 0
	s_mov_b64 s[34:35], -1
	s_waitcnt vmcnt(0) lgkmcnt(0)
	flat_load_dword v0, v[0:1] sc0 sc1
	s_waitcnt vmcnt(0) lgkmcnt(0)
	buffer_inv sc0 sc1
	v_cmp_eq_u32_e32 vcc, 0, v0
	s_and_b64 vcc, vcc, exec
	s_or_b64 s[30:31], s[30:31], vcc
.LBB4_432:                              ;   in Loop: Header=BB4_430 Depth=2
	s_andn2_b64 s[28:29], s[28:29], exec
	s_and_b64 s[34:35], s[34:35], exec
	s_mov_b64 vcc, -1
	s_or_b64 s[28:29], s[28:29], s[34:35]
	s_and_saveexec_b64 s[34:35], s[30:31]
	s_cbranch_execz .LBB4_429
; %bb.433:                              ;   in Loop: Header=BB4_430 Depth=2
	s_sleep 1
	s_trap 2
	ds_read_b64 v[0:1], v0
	s_andn2_b64 s[28:29], s[28:29], exec
	s_waitcnt lgkmcnt(0)
	v_cmp_ge_u64_e32 vcc, v[0:1], v[16:17]
	s_orn2_b64 vcc, vcc, exec
	s_branch .LBB4_429
.LBB4_434:                              ;   in Loop: Header=BB4_397 Depth=1
	s_or_b64 exec, exec, s[24:25]
	s_and_saveexec_b64 s[24:25], s[26:27]
	s_xor_b64 s[24:25], exec, s[24:25]
	s_cbranch_execz .LBB4_436
; %bb.435:                              ;   in Loop: Header=BB4_397 Depth=1
	ds_write_b32 v0, v26
	s_trap 2
.LBB4_436:                              ;   in Loop: Header=BB4_397 Depth=1
	s_or_b64 exec, exec, s[22:23]
	;;#ASMSTART
	s_wakeup
	;;#ASMEND
.LBB4_437:                              ;   in Loop: Header=BB4_397 Depth=1
	s_or_b64 exec, exec, s[20:21]
.LBB4_438:                              ;   in Loop: Header=BB4_397 Depth=1
	s_andn2_saveexec_b64 s[18:19], s[18:19]
	s_cbranch_execz .LBB4_440
; %bb.439:                              ;   in Loop: Header=BB4_397 Depth=1
	s_waitcnt lgkmcnt(0)
	s_barrier
.LBB4_440:                              ;   in Loop: Header=BB4_397 Depth=1
	s_or_b64 exec, exec, s[18:19]
.LBB4_441:                              ;   in Loop: Header=BB4_397 Depth=1
	s_or_b64 exec, exec, s[16:17]
	s_trap 2
	ds_read_b32 v0, v0
	v_and_b32_e32 v1, 0x4000, v62
	v_cmp_ne_u32_e32 vcc, 0, v1
	s_and_b64 s[18:19], s[54:55], vcc
	s_and_saveexec_b64 s[16:17], s[18:19]
	s_cbranch_execz .LBB4_460
; %bb.442:                              ;   in Loop: Header=BB4_397 Depth=1
	s_and_saveexec_b64 s[18:19], s[52:53]
	s_xor_b64 s[18:19], exec, s[18:19]
	s_cbranch_execz .LBB4_457
; %bb.443:                              ;   in Loop: Header=BB4_397 Depth=1
	s_and_saveexec_b64 s[20:21], s[6:7]
	s_cbranch_execz .LBB4_456
; %bb.444:                              ;   in Loop: Header=BB4_397 Depth=1
	s_mov_b64 s[24:25], exec
	v_mbcnt_lo_u32_b32 v1, s24, 0
	v_mbcnt_hi_u32_b32 v1, s25, v1
	v_cmp_eq_u32_e32 vcc, 0, v1
	s_waitcnt lgkmcnt(0)
	s_and_saveexec_b64 s[22:23], vcc
	s_cbranch_execz .LBB4_446
; %bb.445:                              ;   in Loop: Header=BB4_397 Depth=1
	s_bcnt1_i32_b64 s24, s[24:25]
	v_mov_b32_e32 v2, s24
	v_mov_b32_e32 v3, v13
	ds_add_u64 v0, v[2:3]
	s_trap 2
.LBB4_446:                              ;   in Loop: Header=BB4_397 Depth=1
	s_or_b64 exec, exec, s[22:23]
	s_trap 2
	ds_read_b64 v[2:3], v0
	v_lshl_add_u64 v[16:17], v[16:17], 0, v[56:57]
	s_waitcnt lgkmcnt(0)
	v_cmp_lt_u64_e32 vcc, v[2:3], v[16:17]
	s_and_saveexec_b64 s[22:23], vcc
	s_cbranch_execz .LBB4_455
; %bb.447:                              ;   in Loop: Header=BB4_397 Depth=1
	s_mov_b32 s36, 0
	s_mov_b64 s[24:25], 0
                                        ; implicit-def: $sgpr26_sgpr27
                                        ; implicit-def: $sgpr28_sgpr29
	s_branch .LBB4_449
.LBB4_448:                              ;   in Loop: Header=BB4_449 Depth=2
	s_or_b64 exec, exec, s[34:35]
	s_and_b64 vcc, exec, vcc
	s_or_b64 s[24:25], vcc, s[24:25]
	s_andn2_b64 s[26:27], s[26:27], exec
	s_and_b64 vcc, s[28:29], exec
	s_or_b64 s[26:27], s[26:27], vcc
	s_andn2_b64 exec, exec, s[24:25]
	s_cbranch_execz .LBB4_453
.LBB4_449:                              ;   Parent Loop BB4_397 Depth=1
                                        ; =>  This Inner Loop Header: Depth=2
	s_add_i32 s36, s36, 1
	s_cmpk_lg_i32 s36, 0x2710
	s_cselect_b64 s[30:31], -1, 0
	s_and_b64 vcc, exec, s[30:31]
                                        ; implicit-def: $sgpr34_sgpr35
	s_cbranch_vccnz .LBB4_451
; %bb.450:                              ;   in Loop: Header=BB4_449 Depth=2
	s_trap 2
	ds_read_b64 v[2:3], v0
	s_andn2_b64 s[30:31], s[30:31], exec
	s_mov_b32 s36, 0
	s_mov_b64 s[34:35], -1
	s_waitcnt vmcnt(0) lgkmcnt(0)
	flat_load_dword v1, v[2:3] sc0 sc1
	s_waitcnt vmcnt(0) lgkmcnt(0)
	buffer_inv sc0 sc1
	v_cmp_eq_u32_e32 vcc, 0, v1
	s_and_b64 vcc, vcc, exec
	s_or_b64 s[30:31], s[30:31], vcc
.LBB4_451:                              ;   in Loop: Header=BB4_449 Depth=2
	s_andn2_b64 s[28:29], s[28:29], exec
	s_and_b64 s[34:35], s[34:35], exec
	s_mov_b64 vcc, -1
	s_or_b64 s[28:29], s[28:29], s[34:35]
	s_and_saveexec_b64 s[34:35], s[30:31]
	s_cbranch_execz .LBB4_448
; %bb.452:                              ;   in Loop: Header=BB4_449 Depth=2
	s_sleep 1
	s_trap 2
	ds_read_b64 v[2:3], v0
	s_andn2_b64 s[28:29], s[28:29], exec
	s_waitcnt lgkmcnt(0)
	v_cmp_ge_u64_e32 vcc, v[2:3], v[16:17]
	s_orn2_b64 vcc, vcc, exec
	s_branch .LBB4_448
.LBB4_453:                              ;   in Loop: Header=BB4_397 Depth=1
	s_or_b64 exec, exec, s[24:25]
	s_and_saveexec_b64 s[24:25], s[26:27]
	s_xor_b64 s[24:25], exec, s[24:25]
	s_cbranch_execz .LBB4_455
; %bb.454:                              ;   in Loop: Header=BB4_397 Depth=1
	ds_write_b32 v0, v26
	s_trap 2
.LBB4_455:                              ;   in Loop: Header=BB4_397 Depth=1
	s_or_b64 exec, exec, s[22:23]
	;;#ASMSTART
	s_wakeup
	;;#ASMEND
.LBB4_456:                              ;   in Loop: Header=BB4_397 Depth=1
	s_or_b64 exec, exec, s[20:21]
.LBB4_457:                              ;   in Loop: Header=BB4_397 Depth=1
	s_andn2_saveexec_b64 s[18:19], s[18:19]
	s_cbranch_execz .LBB4_459
; %bb.458:                              ;   in Loop: Header=BB4_397 Depth=1
	s_waitcnt lgkmcnt(0)
	s_barrier
.LBB4_459:                              ;   in Loop: Header=BB4_397 Depth=1
	s_or_b64 exec, exec, s[18:19]
.LBB4_460:                              ;   in Loop: Header=BB4_397 Depth=1
	s_or_b64 exec, exec, s[16:17]
	s_trap 2
	s_waitcnt lgkmcnt(0)
	ds_read_b64 v[2:3], v0
	s_waitcnt lgkmcnt(0)
	v_readfirstlane_b32 s16, v2
	v_readfirstlane_b32 s17, v3
	s_cmp_eq_u64 s[16:17], 0
	s_cselect_b64 s[16:17], -1, 0
	s_or_b64 s[18:19], s[16:17], s[16:17]
	s_mov_b64 s[16:17], 0
	s_and_b64 vcc, exec, s[18:19]
	s_cbranch_vccnz .LBB4_489
; %bb.461:                              ;   in Loop: Header=BB4_397 Depth=1
	s_mov_b64 s[18:19], -1
	s_and_saveexec_b64 s[16:17], s[10:11]
	s_cbranch_execz .LBB4_463
; %bb.462:                              ;   in Loop: Header=BB4_397 Depth=1
	ds_read_b32 v1, v0 offset:720
	s_waitcnt lgkmcnt(0)
	v_and_b32_e32 v1, 15, v1
	v_cmp_eq_u32_e32 vcc, 0, v1
	s_orn2_b64 s[18:19], vcc, exec
.LBB4_463:                              ;   in Loop: Header=BB4_397 Depth=1
	s_or_b64 exec, exec, s[16:17]
	s_and_saveexec_b64 s[16:17], s[12:13]
	s_cbranch_execz .LBB4_465
; %bb.464:                              ;   in Loop: Header=BB4_397 Depth=1
	ds_read_b32 v1, v0 offset:784
	s_waitcnt lgkmcnt(0)
	v_and_b32_e32 v1, 15, v1
	v_cmp_eq_u32_e32 vcc, 0, v1
	s_and_b64 s[20:21], s[18:19], vcc
	s_andn2_b64 s[18:19], s[18:19], exec
	s_and_b64 s[20:21], s[20:21], exec
	s_or_b64 s[18:19], s[18:19], s[20:21]
.LBB4_465:                              ;   in Loop: Header=BB4_397 Depth=1
	s_or_b64 exec, exec, s[16:17]
	s_xor_b64 s[18:19], s[18:19], -1
	v_cmp_eq_u32_e32 vcc, 0, v0
	v_cndmask_b32_e64 v0, 0, 1, s[18:19]
	;;#ASMSTART
	;;#ASMEND
	v_mov_b32_e32 v4, 0
	v_cndmask_b32_e32 v10, 0, v12, vcc
	s_mov_b64 s[16:17], -1
	v_cmp_ne_u32_e32 vcc, 0, v0
	v_mov_b32_e32 v0, v10
	v_mov_b32_e32 v1, v61
	;; [unrolled: 1-line block ×3, first 2 shown]
	s_cbranch_vccz .LBB4_467
; %bb.466:                              ;   in Loop: Header=BB4_397 Depth=1
	s_and_saveexec_b64 s[60:61], s[16:17]
	s_cbranch_execnz .LBB4_480
	s_branch .LBB4_488
.LBB4_467:                              ;   in Loop: Header=BB4_397 Depth=1
	v_lshrrev_b32_e32 v0, 12, v10
	v_sub_u32_e32 v43, v0, v60
	v_cmp_lt_i32_e32 vcc, 0, v43
	s_and_saveexec_b64 s[16:17], vcc
	s_cbranch_execz .LBB4_471
; %bb.468:                              ;   in Loop: Header=BB4_397 Depth=1
	s_trap 2
	ds_read_b32 v0, v0
	v_accvgpr_write_b32 a42, v54
	v_accvgpr_write_b32 a35, v13
	;; [unrolled: 1-line block ×4, first 2 shown]
	s_waitcnt lgkmcnt(0)
	ds_read_b64 v[2:3], v0
	v_and_b32_e32 v0, 0xff, v0
	v_cvt_f32_bf8_sdwa v31, v0 src0_sel:BYTE_0
	v_accvgpr_write_b32 a14, v32
	v_accvgpr_write_b32 a47, v21
	;; [unrolled: 1-line block ×13, first 2 shown]
	s_mov_b64 s[18:19], 0
	s_waitcnt lgkmcnt(0)
	v_mov_b64_e32 v[60:61], v[2:3]
	v_accvgpr_write_b32 a46, v20
.LBB4_469:                              ;   Parent Loop BB4_397 Depth=1
                                        ; =>  This Inner Loop Header: Depth=2
	s_waitcnt vmcnt(0)
	v_lshl_add_u64 v[18:19], v[14:15], 0, v[60:61]
	global_load_dwordx4 v[10:13], v[18:19], off nt
	global_load_dwordx4 v[14:17], v[18:19], off offset:1024 nt
	global_load_dwordx4 v[22:25], v[18:19], off offset:2048 nt
	s_nop 0
	global_load_dwordx4 v[18:21], v[18:19], off offset:3072 nt
	v_accvgpr_write_b32 a45, v43
	s_waitcnt vmcnt(0)
	v_and_b32_e32 v62, 0xff, v10
	v_cvt_f32_bf8_sdwa v36, v62 src0_sel:BYTE_0
	v_bfe_u32 v59, v10, 8, 8
	v_bfe_u32 v58, v10, 16, 8
	v_lshrrev_b32_e32 v26, 24, v10
	v_mul_f32_e32 v36, v31, v36
	v_med3_f32 v37, v36, s69, v30
	v_cmp_nlg_f32_e64 vcc, |v36|, s68
	v_cvt_f32_bf8_sdwa v58, v58 src0_sel:BYTE_0
	v_and_b32_e32 v50, 0xff, v11
	v_cndmask_b32_e32 v36, v37, v36, vcc
	v_cvt_f32_bf8_sdwa v37, v59 src0_sel:BYTE_0
	v_cvt_f32_bf8_sdwa v26, v26 src0_sel:BYTE_0
	v_bfe_u32 v38, v11, 8, 8
	v_cvt_f32_bf8_sdwa v50, v50 src0_sel:BYTE_0
	v_lshrrev_b32_e32 v10, 24, v11
	v_bfe_u32 v11, v11, 16, 8
	v_mul_f32_e32 v37, v31, v37
	v_cvt_f32_bf8_sdwa v38, v38 src0_sel:BYTE_0
	v_med3_f32 v59, v37, s69, v30
	v_cmp_nlg_f32_e64 vcc, |v37|, s68
	v_mul_f32_e32 v58, v31, v58
	v_cvt_f32_bf8_sdwa v11, v11 src0_sel:BYTE_0
	v_cndmask_b32_e32 v37, v59, v37, vcc
	v_med3_f32 v59, v58, s69, v30
	v_cmp_nlg_f32_e64 vcc, |v58|, s68
	v_mul_f32_e32 v26, v31, v26
	v_cvt_f32_bf8_sdwa v10, v10 src0_sel:BYTE_0
	v_cndmask_b32_e32 v58, v59, v58, vcc
	v_med3_f32 v59, v26, s69, v30
	v_cmp_nlg_f32_e64 vcc, |v26|, s68
	v_mul_f32_e32 v50, v31, v50
	v_mul_f32_e32 v38, v31, v38
	v_cndmask_b32_e32 v26, v59, v26, vcc
	v_med3_f32 v59, v50, s69, v30
	v_cmp_nlg_f32_e64 vcc, |v50|, s68
	v_mul_f32_e32 v11, v31, v11
	v_mul_f32_e32 v10, v31, v10
	v_cndmask_b32_e32 v50, v59, v50, vcc
	v_med3_f32 v59, v38, s69, v30
	v_cmp_nlg_f32_e64 vcc, |v38|, s68
	v_and_b32_e32 v34, 0xff, v12
	v_bfe_u32 v56, v12, 8, 8
	v_cndmask_b32_e32 v38, v59, v38, vcc
	v_med3_f32 v59, v11, s69, v30
	v_cmp_nlg_f32_e64 vcc, |v11|, s68
	v_lshrrev_b32_e32 v0, 24, v12
	v_bfe_u32 v12, v12, 16, 8
	v_cndmask_b32_e32 v11, v59, v11, vcc
	v_med3_f32 v59, v10, s69, v30
	v_cmp_nlg_f32_e64 vcc, |v10|, s68
	v_cvt_f32_bf8_sdwa v12, v12 src0_sel:BYTE_0
	v_cvt_f32_bf8_sdwa v0, v0 src0_sel:BYTE_0
	v_cndmask_b32_e32 v10, v59, v10, vcc
	v_mov_b32_e32 v59, 0
	v_cvt_pk_bf8_f32 v59, v36, v36
	v_mov_b32_e32 v36, 0
	v_cvt_pk_bf8_f32 v36, v37, v37
	;; [unrolled: 2-line block ×8, first 2 shown]
	v_lshlrev_b32_e32 v10, 8, v36
	v_lshlrev_b32_e32 v36, 8, v50
	v_and_b32_e32 v38, 0xff, v38
	v_perm_b32 v26, v36, v26, s70
	v_lshlrev_b32_e32 v11, 24, v11
	v_lshlrev_b32_e32 v38, 16, v38
	v_or3_b32 v11, v11, v38, v26
	v_cvt_f32_bf8_sdwa v26, v34 src0_sel:BYTE_0
	v_and_b32_e32 v36, 0xff, v37
	v_perm_b32 v10, v10, v59, s70
	v_lshlrev_b32_e32 v37, 24, v58
	v_mul_f32_e32 v26, v31, v26
	v_med3_f32 v34, v26, s69, v30
	v_cmp_nlg_f32_e64 vcc, |v26|, s68
	v_lshlrev_b32_e32 v36, 16, v36
	v_or3_b32 v10, v37, v36, v10
	v_cndmask_b32_e32 v26, v34, v26, vcc
	v_cvt_f32_bf8_sdwa v34, v56 src0_sel:BYTE_0
	v_mul_f32_e32 v12, v31, v12
	v_mul_f32_e32 v0, v31, v0
	v_and_b32_e32 v45, 0xff, v13
	v_mul_f32_e32 v34, v31, v34
	v_med3_f32 v36, v34, s69, v30
	v_cmp_nlg_f32_e64 vcc, |v34|, s68
	v_bfe_u32 v32, v13, 8, 8
	v_bfe_u32 v55, v13, 16, 8
	v_cndmask_b32_e32 v34, v36, v34, vcc
	v_med3_f32 v36, v12, s69, v30
	v_cmp_nlg_f32_e64 vcc, |v12|, s68
	v_lshrrev_b32_e32 v4, 24, v13
	v_and_b32_e32 v1, 0xff, v14
	v_cndmask_b32_e32 v12, v36, v12, vcc
	v_med3_f32 v36, v0, s69, v30
	v_cmp_nlg_f32_e64 vcc, |v0|, s68
	v_bfe_u32 v6, v14, 8, 8
	v_and_b32_e32 v33, 0xff, v15
	v_cndmask_b32_e32 v0, v36, v0, vcc
	v_mov_b32_e32 v36, 0
	v_cvt_pk_bf8_f32 v36, v26, v26
	v_mov_b32_e32 v26, 0
	v_cvt_pk_bf8_f32 v26, v34, v34
	;; [unrolled: 2-line block ×4, first 2 shown]
	v_lshlrev_b32_e32 v0, 8, v26
	v_and_b32_e32 v26, 0xff, v34
	v_perm_b32 v0, v0, v36, s70
	v_lshlrev_b32_e32 v12, 24, v12
	v_lshlrev_b32_e32 v26, 16, v26
	v_or3_b32 v12, v12, v26, v0
	v_cvt_f32_bf8_sdwa v0, v45 src0_sel:BYTE_0
	v_bfe_u32 v44, v15, 8, 8
	v_lshrrev_b32_e32 v52, 24, v15
	v_bfe_u32 v53, v15, 16, 8
	v_mul_f32_e32 v0, v31, v0
	v_med3_f32 v26, v0, s69, v30
	v_cmp_nlg_f32_e64 vcc, |v0|, s68
	v_and_b32_e32 v15, 0xff, v17
	v_bfe_u32 v43, v17, 8, 8
	v_cndmask_b32_e32 v0, v26, v0, vcc
	v_accvgpr_write_b32 a58, v0
	v_cvt_f32_bf8_sdwa v0, v32 src0_sel:BYTE_0
	v_lshrrev_b32_e32 v49, 24, v17
	v_bfe_u32 v42, v17, 16, 8
	v_bfe_u32 v17, v25, 8, 8
	v_mul_f32_e32 v0, v31, v0
	v_med3_f32 v26, v0, s69, v30
	v_cmp_nlg_f32_e64 vcc, |v0|, s68
	v_accvgpr_write_b32 a55, v17
	v_lshrrev_b32_e32 v17, 24, v25
	v_cndmask_b32_e32 v0, v26, v0, vcc
	v_accvgpr_write_b32 a59, v0
	v_cvt_f32_bf8_sdwa v0, v55 src0_sel:BYTE_0
	v_bfe_u32 v7, v14, 16, 8
	v_accvgpr_write_b32 a50, v17
	v_bfe_u32 v17, v25, 16, 8
	v_mul_f32_e32 v0, v31, v0
	v_med3_f32 v26, v0, s69, v30
	v_cmp_nlg_f32_e64 vcc, |v0|, s68
	v_accvgpr_write_b32 a52, v17
	v_and_b32_e32 v17, 0xff, v18
	v_cndmask_b32_e32 v0, v26, v0, vcc
	v_accvgpr_write_b32 a60, v0
	v_cvt_f32_bf8_sdwa v0, v4 src0_sel:BYTE_0
	v_accvgpr_write_b32 a48, v17
	v_bfe_u32 v17, v18, 8, 8
	v_accvgpr_write_b32 a49, v17
	v_mul_f32_e32 v0, v31, v0
	v_med3_f32 v4, v0, s69, v30
	v_cmp_nlg_f32_e64 vcc, |v0|, s68
	v_bfe_u32 v17, v18, 16, 8
	v_accvgpr_write_b32 a51, v17
	v_cndmask_b32_e32 v45, v4, v0, vcc
	v_cvt_f32_bf8_sdwa v0, v1 src0_sel:BYTE_0
	v_and_b32_e32 v17, 0xff, v19
	v_accvgpr_write_b32 a54, v17
	v_bfe_u32 v17, v19, 8, 8
	v_mul_f32_e32 v0, v31, v0
	v_med3_f32 v1, v0, s69, v30
	v_cmp_nlg_f32_e64 vcc, |v0|, s68
	v_lshrrev_b32_e32 v5, 24, v14
	v_accvgpr_write_b32 a56, v17
	v_cndmask_b32_e32 v32, v1, v0, vcc
	v_cvt_f32_bf8_sdwa v1, v6 src0_sel:BYTE_0
	v_lshrrev_b32_e32 v17, 24, v19
	v_lshrrev_b32_e32 v27, 24, v21
	v_accvgpr_write_b32 a53, v17
	v_mul_f32_e32 v1, v31, v1
	v_med3_f32 v6, v1, s69, v30
	v_cmp_nlg_f32_e64 vcc, |v1|, s68
	v_and_b32_e32 v51, 0xff, v21
	v_bfe_u32 v17, v21, 8, 8
	v_cndmask_b32_e32 v4, v6, v1, vcc
	v_cvt_f32_bf8_sdwa v6, v7 src0_sel:BYTE_0
	v_accvgpr_write_b32 a57, v27
	v_bfe_u32 v27, v21, 16, 8
	v_and_b32_e32 v9, 0xff, v16
	v_mul_f32_e32 v6, v31, v6
	v_med3_f32 v7, v6, s69, v30
	v_cmp_nlg_f32_e64 vcc, |v6|, s68
	v_bfe_u32 v8, v16, 8, 8
	v_cvt_f32_bf8_sdwa v8, v8 src0_sel:BYTE_0
	v_cndmask_b32_e32 v21, v7, v6, vcc
	v_cvt_f32_bf8_sdwa v7, v5 src0_sel:BYTE_0
	v_bfe_u32 v13, v16, 16, 8
	v_mul_f32_e32 v8, v31, v8
	v_lshrrev_b32_e32 v14, 24, v16
	v_mul_f32_e32 v7, v31, v7
	v_med3_f32 v26, v7, s69, v30
	v_cmp_nlg_f32_e64 vcc, |v7|, s68
	v_and_b32_e32 v48, 0xff, v22
	v_bfe_u32 v41, v22, 8, 8
	v_cndmask_b32_e32 v6, v26, v7, vcc
	v_cvt_f32_bf8_sdwa v7, v33 src0_sel:BYTE_0
	v_bfe_u32 v40, v22, 16, 8
	v_lshrrev_b32_e32 v47, 24, v22
	v_and_b32_e32 v46, 0xff, v23
	v_mul_f32_e32 v7, v31, v7
	v_med3_f32 v26, v7, s69, v30
	v_cmp_nlg_f32_e64 vcc, |v7|, s68
	v_bfe_u32 v16, v23, 8, 8
	v_bfe_u32 v28, v23, 16, 8
	v_cndmask_b32_e32 v1, v26, v7, vcc
	v_cvt_f32_bf8_sdwa v7, v44 src0_sel:BYTE_0
	v_lshrrev_b32_e32 v29, 24, v23
	v_and_b32_e32 v22, 0xff, v24
	v_cvt_f32_bf8_sdwa v22, v22 src0_sel:BYTE_0
	v_mul_f32_e32 v7, v31, v7
	v_med3_f32 v26, v7, s69, v30
	v_cmp_nlg_f32_e64 vcc, |v7|, s68
	v_mul_f32_e32 v22, v31, v22
	v_bfe_u32 v39, v24, 8, 8
	v_cndmask_b32_e32 v44, v26, v7, vcc
	v_cvt_f32_bf8_sdwa v7, v53 src0_sel:BYTE_0
	v_bfe_u32 v23, v24, 16, 8
	v_cvt_f32_bf8_sdwa v23, v23 src0_sel:BYTE_0
	v_lshrrev_b32_e32 v57, 24, v24
	v_mul_f32_e32 v7, v31, v7
	v_med3_f32 v26, v7, s69, v30
	v_cmp_nlg_f32_e64 vcc, |v7|, s68
	v_mul_f32_e32 v23, v31, v23
	v_and_b32_e32 v24, 0xff, v25
	v_cndmask_b32_e32 v53, v26, v7, vcc
	v_cvt_f32_bf8_sdwa v7, v52 src0_sel:BYTE_0
	v_cvt_f32_bf8_sdwa v24, v24 src0_sel:BYTE_0
	v_accvgpr_read_b32 v0, a55
	v_lshrrev_b32_e32 v54, 24, v18
	v_mul_f32_e32 v7, v31, v7
	v_med3_f32 v26, v7, s69, v30
	v_cmp_nlg_f32_e64 vcc, |v7|, s68
	v_mul_f32_e32 v24, v31, v24
	v_bfe_u32 v19, v19, 16, 8
	v_cndmask_b32_e32 v52, v26, v7, vcc
	v_cvt_f32_bf8_sdwa v7, v9 src0_sel:BYTE_0
	v_cvt_f32_bf8_sdwa v19, v19 src0_sel:BYTE_0
	v_and_b32_e32 v18, 0xff, v20
	v_cvt_f32_bf8_sdwa v18, v18 src0_sel:BYTE_0
	v_mul_f32_e32 v7, v31, v7
	v_med3_f32 v9, v7, s69, v30
	v_cmp_nlg_f32_e64 vcc, |v7|, s68
	v_mul_f32_e32 v19, v31, v19
	v_mul_f32_e32 v18, v31, v18
	v_cndmask_b32_e32 v7, v9, v7, vcc
	v_med3_f32 v9, v8, s69, v30
	v_cmp_nlg_f32_e64 vcc, |v8|, s68
	v_bfe_u32 v35, v20, 8, 8
	v_lshrrev_b32_e32 v25, 24, v20
	v_cndmask_b32_e32 v8, v9, v8, vcc
	v_cvt_f32_bf8_sdwa v9, v13 src0_sel:BYTE_0
	v_bfe_u32 v20, v20, 16, 8
	v_cvt_f32_bf8_sdwa v17, v17 src0_sel:BYTE_0
	v_accvgpr_read_b32 v5, a57
	v_mul_f32_e32 v9, v31, v9
	v_med3_f32 v13, v9, s69, v30
	v_cmp_nlg_f32_e64 vcc, |v9|, s68
	v_mul_f32_e32 v17, v31, v17
	v_mov_b32_e32 v55, 0
	v_cndmask_b32_e32 v9, v13, v9, vcc
	v_cvt_f32_bf8_sdwa v13, v14 src0_sel:BYTE_0
	v_mov_b32_e32 v33, 0
	v_mul_f32_e32 v13, v31, v13
	v_med3_f32 v14, v13, s69, v30
	v_cmp_nlg_f32_e64 vcc, |v13|, s68
	s_nop 1
	v_cndmask_b32_e32 v13, v14, v13, vcc
	v_cvt_f32_bf8_sdwa v14, v15 src0_sel:BYTE_0
	s_nop 0
	v_mul_f32_e32 v14, v31, v14
	v_med3_f32 v15, v14, s69, v30
	v_cmp_nlg_f32_e64 vcc, |v14|, s68
	s_nop 1
	v_cndmask_b32_e32 v14, v15, v14, vcc
	v_cvt_f32_bf8_sdwa v15, v43 src0_sel:BYTE_0
	s_nop 0
	;; [unrolled: 7-line block ×12, first 2 shown]
	v_mul_f32_e32 v16, v31, v16
	v_med3_f32 v26, v16, s69, v30
	v_cmp_nlg_f32_e64 vcc, |v16|, s68
	s_nop 1
	v_cndmask_b32_e32 v16, v26, v16, vcc
	v_med3_f32 v26, v22, s69, v30
	v_cmp_nlg_f32_e64 vcc, |v22|, s68
	s_nop 1
	v_cndmask_b32_e32 v22, v26, v22, vcc
	v_cvt_f32_bf8_sdwa v26, v39 src0_sel:BYTE_0
	s_nop 0
	v_mul_f32_e32 v26, v31, v26
	v_med3_f32 v29, v26, s69, v30
	v_cmp_nlg_f32_e64 vcc, |v26|, s68
	s_nop 1
	v_cndmask_b32_e32 v26, v29, v26, vcc
	v_med3_f32 v29, v23, s69, v30
	v_cmp_nlg_f32_e64 vcc, |v23|, s68
	s_nop 1
	v_cndmask_b32_e32 v23, v29, v23, vcc
	v_cvt_f32_bf8_sdwa v29, v57 src0_sel:BYTE_0
	s_nop 0
	v_mul_f32_e32 v29, v31, v29
	v_med3_f32 v36, v29, s69, v30
	v_cmp_nlg_f32_e64 vcc, |v29|, s68
	s_nop 1
	v_cndmask_b32_e32 v29, v36, v29, vcc
	v_med3_f32 v36, v24, s69, v30
	v_cmp_nlg_f32_e64 vcc, |v24|, s68
	s_nop 1
	v_cndmask_b32_e32 v24, v36, v24, vcc
	v_cvt_f32_bf8_sdwa v36, v0 src0_sel:BYTE_0
	v_accvgpr_read_b32 v0, a52
	v_mul_f32_e32 v36, v31, v36
	v_med3_f32 v37, v36, s69, v30
	v_cmp_nlg_f32_e64 vcc, |v36|, s68
	s_nop 1
	v_cndmask_b32_e32 v38, v37, v36, vcc
	v_cvt_f32_bf8_sdwa v36, v0 src0_sel:BYTE_0
	v_accvgpr_read_b32 v0, a50
	v_mul_f32_e32 v36, v31, v36
	;; [unrolled: 7-line block ×6, first 2 shown]
	v_med3_f32 v56, v47, s69, v30
	v_cmp_nlg_f32_e64 vcc, |v47|, s68
	s_nop 1
	v_cndmask_b32_e32 v47, v56, v47, vcc
	v_cvt_f32_bf8_sdwa v56, v54 src0_sel:BYTE_0
	v_mov_b32_e32 v54, 0
	v_mul_f32_e32 v56, v31, v56
	v_med3_f32 v57, v56, s69, v30
	v_cmp_nlg_f32_e64 vcc, |v56|, s68
	s_nop 1
	v_cndmask_b32_e32 v56, v57, v56, vcc
	v_cvt_f32_bf8_sdwa v57, v0 src0_sel:BYTE_0
	v_accvgpr_read_b32 v0, a56
	v_mul_f32_e32 v57, v31, v57
	v_med3_f32 v58, v57, s69, v30
	v_cmp_nlg_f32_e64 vcc, |v57|, s68
	s_nop 1
	v_cndmask_b32_e32 v57, v58, v57, vcc
	v_cvt_f32_bf8_sdwa v58, v0 src0_sel:BYTE_0
	v_accvgpr_read_b32 v0, a53
	v_mul_f32_e32 v58, v31, v58
	v_med3_f32 v59, v58, s69, v30
	v_cmp_nlg_f32_e64 vcc, |v58|, s68
	s_nop 1
	v_cndmask_b32_e32 v58, v59, v58, vcc
	v_med3_f32 v59, v19, s69, v30
	v_cmp_nlg_f32_e64 vcc, |v19|, s68
	s_nop 1
	v_cndmask_b32_e32 v19, v59, v19, vcc
	v_cvt_f32_bf8_sdwa v59, v0 src0_sel:BYTE_0
	s_nop 0
	v_mul_f32_e32 v59, v31, v59
	v_med3_f32 v62, v59, s69, v30
	v_cmp_nlg_f32_e64 vcc, |v59|, s68
	s_nop 1
	v_cndmask_b32_e32 v59, v62, v59, vcc
	v_med3_f32 v62, v18, s69, v30
	v_cmp_nlg_f32_e64 vcc, |v18|, s68
	s_nop 1
	v_cndmask_b32_e32 v62, v62, v18, vcc
	v_cvt_f32_bf8_sdwa v18, v35 src0_sel:BYTE_0
	s_nop 0
	v_mul_f32_e32 v18, v31, v18
	v_med3_f32 v35, v18, s69, v30
	v_cmp_nlg_f32_e64 vcc, |v18|, s68
	s_nop 1
	v_cndmask_b32_e32 v35, v35, v18, vcc
	v_cvt_f32_bf8_sdwa v18, v20 src0_sel:BYTE_0
	s_nop 0
	v_mul_f32_e32 v18, v31, v18
	;; [unrolled: 7-line block ×4, first 2 shown]
	v_med3_f32 v51, v18, s69, v30
	v_cmp_nlg_f32_e64 vcc, |v18|, s68
	s_nop 1
	v_cndmask_b32_e32 v51, v51, v18, vcc
	v_med3_f32 v18, v17, s69, v30
	v_cmp_nlg_f32_e64 vcc, |v17|, s68
	s_nop 1
	v_cndmask_b32_e32 v0, v18, v17, vcc
	v_cvt_f32_bf8_sdwa v17, v27 src0_sel:BYTE_0
	s_nop 0
	v_mul_f32_e32 v17, v31, v17
	v_med3_f32 v18, v17, s69, v30
	v_cmp_nlg_f32_e64 vcc, |v17|, s68
	s_nop 1
	v_cndmask_b32_e32 v27, v18, v17, vcc
	v_cvt_f32_bf8_sdwa v17, v5 src0_sel:BYTE_0
	v_cvt_pk_bf8_f32 v54, v27, v27
	v_mov_b32_e32 v27, 0
	v_mul_f32_e32 v17, v31, v17
	v_med3_f32 v18, v17, s69, v30
	v_cmp_nlg_f32_e64 vcc, |v17|, s68
	v_and_b32_e32 v54, 0xff, v54
	v_lshlrev_b32_e32 v54, 16, v54
	v_cndmask_b32_e32 v5, v18, v17, vcc
	v_accvgpr_read_b32 v17, a58
	v_cvt_pk_bf8_f32 v55, v17, v17
	v_accvgpr_read_b32 v17, a59
	v_cvt_pk_bf8_f32 v33, v17, v17
	v_mov_b32_e32 v17, 0
	v_accvgpr_read_b32 v18, a60
	v_cvt_pk_bf8_f32 v17, v18, v18
	v_mov_b32_e32 v18, 0
	v_cvt_pk_bf8_f32 v18, v45, v45
	v_mov_b32_e32 v45, 0
	;; [unrolled: 2-line block ×47, first 2 shown]
	v_cvt_pk_bf8_f32 v51, v0, v0
	v_lshlrev_b32_e32 v0, 8, v33
	v_cvt_pk_bf8_f32 v27, v5, v5
	v_perm_b32 v5, v0, v55, s70
	v_lshlrev_b32_e32 v0, 8, v32
	v_perm_b32 v32, v0, v45, s70
	v_lshlrev_b32_e32 v0, 8, v1
	v_perm_b32 v33, v0, v6, s70
	v_lshlrev_b32_e32 v0, 8, v7
	v_perm_b32 v52, v0, v52, s70
	v_lshlrev_b32_e32 v0, 8, v14
	v_perm_b32 v14, v0, v13, s70
	v_lshlrev_b32_e32 v0, 8, v48
	v_perm_b32 v48, v0, v49, s70
	v_lshlrev_b32_e32 v0, 8, v46
	v_perm_b32 v49, v0, v43, s70
	v_lshlrev_b32_e32 v0, 8, v22
	v_perm_b32 v16, v0, v16, s70
	v_lshlrev_b32_e32 v0, 8, v24
	v_perm_b32 v22, v0, v29, s70
	v_lshlrev_b32_e32 v0, 8, v39
	v_lshlrev_b32_e32 v1, 8, v57
	v_perm_b32 v24, v0, v37, s70
	v_perm_b32 v29, v1, v56, s70
	scratch_load_dwordx2 v[0:1], off, s33 offset:176 ; 8-byte Folded Reload
	v_accvgpr_read_b32 v6, a46
	v_accvgpr_read_b32 v7, a47
	v_lshl_add_u64 v[60:61], v[60:61], 0, v[6:7]
	v_and_b32_e32 v4, 0xff, v4
	v_and_b32_e32 v13, 0xff, v44
	v_lshlrev_b32_e32 v37, 8, v51
	v_and_b32_e32 v8, 0xff, v8
	v_and_b32_e32 v34, 0xff, v34
	;; [unrolled: 1-line block ×6, first 2 shown]
	v_lshlrev_b32_e32 v9, 24, v9
	v_lshlrev_b32_e32 v39, 24, v42
	;; [unrolled: 1-line block ×7, first 2 shown]
	v_perm_b32 v25, v37, v25, s70
	v_lshlrev_b32_e32 v8, 16, v8
	v_lshlrev_b32_e32 v34, 16, v34
	;; [unrolled: 1-line block ×6, first 2 shown]
	v_or3_b32 v8, v9, v8, v52
	v_or3_b32 v9, v39, v34, v14
	;; [unrolled: 1-line block ×4, first 2 shown]
	v_accvgpr_read_b32 v57, a33
	v_accvgpr_read_b32 v43, a45
	;; [unrolled: 1-line block ×3, first 2 shown]
	v_sub_u32_e32 v43, v43, v56
	v_and_b32_e32 v50, 0xff, v50
	v_and_b32_e32 v35, 0xff, v35
	v_cmp_gt_i32_e32 vcc, 1, v43
	v_lshlrev_b32_e32 v55, 24, v47
	v_lshlrev_b32_e32 v19, 24, v19
	;; [unrolled: 1-line block ×6, first 2 shown]
	s_or_b64 s[18:19], vcc, s[18:19]
	s_waitcnt vmcnt(0)
	v_lshl_add_u64 v[0:1], v[0:1], 0, v[2:3]
	v_lshl_add_u64 v[2:3], v[2:3], 0, v[6:7]
	v_and_b32_e32 v6, 0xff, v17
	v_lshlrev_b32_e32 v7, 24, v18
	v_lshlrev_b32_e32 v6, 16, v6
	;; [unrolled: 1-line block ×5, first 2 shown]
	v_or3_b32 v13, v7, v6, v5
	v_or3_b32 v6, v17, v4, v32
	;; [unrolled: 1-line block ×5, first 2 shown]
	global_store_dwordx4 v[0:1], v[10:13], off nt
	global_store_dwordx4 v[0:1], v[6:9], off offset:1024 nt
	global_store_dwordx4 v[0:1], v[14:17], off offset:2048 nt
	scratch_load_dwordx2 v[14:15], off, s33 offset:176 ; 8-byte Folded Reload
	v_lshlrev_b32_e32 v21, 8, v62
	v_and_b32_e32 v40, 0xff, v58
	v_perm_b32 v21, v21, v59, s70
	v_lshlrev_b32_e32 v51, 16, v40
	v_or3_b32 v18, v55, v50, v24
	v_or3_b32 v19, v19, v51, v29
	;; [unrolled: 1-line block ×4, first 2 shown]
	global_store_dwordx4 v[0:1], v[18:21], off offset:3072 nt
	s_andn2_b64 exec, exec, s[18:19]
	s_cbranch_execnz .LBB4_469
; %bb.470:                              ;   in Loop: Header=BB4_397 Depth=1
	s_or_b64 exec, exec, s[18:19]
	v_accvgpr_read_b32 v25, a7
	v_accvgpr_read_b32 v59, a9
	;; [unrolled: 1-line block ×35, first 2 shown]
	v_mov_b32_e32 v26, 1
	v_accvgpr_read_b32 v40, a44
	v_accvgpr_read_b32 v10, a5
.LBB4_471:                              ;   in Loop: Header=BB4_397 Depth=1
	s_or_b64 exec, exec, s[16:17]
	v_and_b32_e32 v9, 0x3ffff000, v10
	v_cmp_ne_u32_e32 vcc, v9, v10
	s_mov_b64 s[16:17], 0
	v_mov_b32_e32 v4, 0
                                        ; implicit-def: $vgpr0
                                        ; implicit-def: $vgpr1
                                        ; implicit-def: $vgpr8
	s_and_saveexec_b64 s[60:61], vcc
	s_cbranch_execz .LBB4_479
; %bb.472:                              ;   in Loop: Header=BB4_397 Depth=1
	v_lshlrev_b32_e32 v0, 6, v43
	v_accvgpr_read_b32 v2, a21
	v_sub_u32_e32 v0, v2, v0
	v_ashrrev_i32_e32 v2, 31, v0
	v_lshrrev_b32_e32 v2, 26, v2
	v_add_u32_e32 v2, v0, v2
	v_ashrrev_i32_e32 v3, 6, v2
	v_and_b32_e32 v2, 0xffffffc0, v2
	v_and_b32_e32 v1, 0xfff, v10
	v_sub_u32_e32 v5, v0, v2
	v_and_b32_e32 v6, 0xc00, v10
	v_lshlrev_b32_e32 v0, 4, v5
	v_sub_u32_e32 v7, v1, v6
	v_lshl_add_u32 v4, v3, 10, v0
	v_bfe_u32 v2, v10, 10, 2
	v_cmp_lt_i32_e32 vcc, 15, v7
	v_sub_u32_e32 v0, v1, v4
	s_nop 0
	v_addc_co_u32_e64 v1, s[16:17], 0, v2, vcc
	v_sub_u32_e32 v6, v1, v3
	v_cmp_lt_i32_e64 s[16:17], 15, v0
	s_and_saveexec_b64 s[62:63], s[16:17]
	s_cbranch_execz .LBB4_476
; %bb.473:                              ;   in Loop: Header=BB4_397 Depth=1
	s_trap 2
	ds_read_b32 v1, v0
	ds_read_b64 v[2:3], v0
	v_accvgpr_write_b32 a3, v10
	v_accvgpr_write_b32 a42, v54
	;; [unrolled: 1-line block ×3, first 2 shown]
	s_waitcnt lgkmcnt(0)
	v_and_b32_e32 v1, 0xff, v1
	v_cvt_f32_bf8_sdwa v1, v1 src0_sel:BYTE_0
	v_accvgpr_write_b32 a27, v13
	v_accvgpr_write_b32 a25, v17
	;; [unrolled: 1-line block ×4, first 2 shown]
	v_add_u32_e32 v10, v4, v9
	v_accvgpr_write_b32 a44, v40
	v_accvgpr_write_b32 a43, v55
	v_accvgpr_write_b32 a34, v20
	v_accvgpr_write_b32 a26, v12
	v_accvgpr_write_b32 a24, v16
	v_accvgpr_write_b32 a5, v51
	v_accvgpr_write_b32 a15, v33
	v_accvgpr_write_b32 a16, v34
	v_accvgpr_write_b32 a17, v35
	v_ashrrev_i32_e32 v11, 31, v10
	s_mov_b64 s[64:65], 0
.LBB4_474:                              ;   Parent Loop BB4_397 Depth=1
                                        ; =>  This Inner Loop Header: Depth=2
	v_lshl_add_u64 v[12:13], v[2:3], 0, v[10:11]
	global_load_dwordx4 v[32:35], v[12:13], off nt
	v_sub_u32_e32 v0, v0, v27
	v_lshl_add_u64 v[10:11], v[10:11], 0, v[38:39]
	v_cmp_gt_i32_e64 s[16:17], 16, v0
	v_mov_b32_e32 v8, 0
	v_mov_b32_e32 v9, 0
	;; [unrolled: 1-line block ×8, first 2 shown]
	v_sub_u32_e32 v6, v6, v56
	s_or_b64 s[64:65], s[16:17], s[64:65]
	v_mov_b32_e32 v4, 0
	s_waitcnt vmcnt(0)
	v_mov_b32_e32 v15, 0
	v_mov_b32_e32 v14, 0
	;; [unrolled: 1-line block ×7, first 2 shown]
	v_and_b32_e32 v27, 0xff, v32
	v_bfe_u32 v28, v32, 8, 8
	v_lshrrev_b32_e32 v29, 24, v32
	v_bfe_u32 v31, v32, 16, 8
	v_and_b32_e32 v32, 0xff, v33
	v_bfe_u32 v36, v33, 8, 8
	v_lshrrev_b32_e32 v37, 24, v33
	v_bfe_u32 v33, v33, 16, 8
	;; [unrolled: 4-line block ×4, first 2 shown]
	v_cvt_f32_bf8_sdwa v27, v27 src0_sel:BYTE_0
	v_cvt_f32_bf8_sdwa v28, v28 src0_sel:BYTE_0
	;; [unrolled: 1-line block ×16, first 2 shown]
	v_mul_f32_e32 v27, v1, v27
	v_mul_f32_e32 v28, v1, v28
	;; [unrolled: 1-line block ×9, first 2 shown]
	v_med3_f32 v52, v27, s69, v30
	v_med3_f32 v53, v28, s69, v30
	v_cmp_nlg_f32_e64 s[36:37], |v27|, s68
	v_cmp_nlg_f32_e64 s[38:39], |v28|, s68
	v_mul_f32_e32 v29, v1, v29
	v_mul_f32_e32 v32, v1, v32
	;; [unrolled: 1-line block ×7, first 2 shown]
	v_med3_f32 v54, v31, s69, v30
	v_med3_f32 v41, v36, s69, v30
	v_cmp_nlg_f32_e64 s[18:19], |v36|, s68
	v_med3_f32 v42, v33, s69, v30
	v_cmp_nlg_f32_e64 s[20:21], |v33|, s68
	;; [unrolled: 2-line block ×4, first 2 shown]
	v_cndmask_b32_e64 v27, v52, v27, s[36:37]
	v_med3_f32 v52, v50, s69, v30
	v_cmp_nlg_f32_e64 s[36:37], |v50|, s68
	v_cndmask_b32_e64 v28, v53, v28, s[38:39]
	v_med3_f32 v53, v35, s69, v30
	v_cmp_nlg_f32_e64 s[38:39], |v35|, s68
	v_cmp_nlg_f32_e64 s[40:41], |v31|, s68
	v_med3_f32 v55, v29, s69, v30
	v_med3_f32 v40, v32, s69, v30
	v_cmp_nlg_f32_e64 s[16:17], |v32|, s68
	v_med3_f32 v43, v37, s69, v30
	v_cmp_nlg_f32_e64 s[22:23], |v37|, s68
	;; [unrolled: 2-line block ×5, first 2 shown]
	v_cndmask_b32_e64 v31, v54, v31, s[40:41]
	v_med3_f32 v54, v51, s69, v30
	v_cmp_nlg_f32_e64 s[40:41], |v51|, s68
	v_cmp_nlg_f32_e64 s[42:43], |v29|, s68
	v_cndmask_b32_e64 v36, v41, v36, s[18:19]
	v_cndmask_b32_e64 v33, v42, v33, s[20:21]
	;; [unrolled: 1-line block ×13, first 2 shown]
	v_cvt_pk_bf8_f32 v8, v28, v28
	v_cvt_pk_bf8_f32 v9, v31, v31
	;; [unrolled: 1-line block ×16, first 2 shown]
	v_lshlrev_b32_e32 v8, 8, v8
	v_and_b32_e32 v9, 0xff, v9
	v_lshlrev_b32_e32 v16, 8, v16
	v_and_b32_e32 v17, 0xff, v17
	;; [unrolled: 2-line block ×4, first 2 shown]
	v_accvgpr_read_b32 v57, a33
	v_accvgpr_read_b32 v38, a38
	v_lshlrev_b32_e32 v15, 24, v15
	v_lshlrev_b32_e32 v18, 24, v18
	;; [unrolled: 1-line block ×5, first 2 shown]
	v_perm_b32 v4, v8, v4, s70
	v_lshlrev_b32_e32 v8, 16, v17
	v_perm_b32 v16, v16, v14, s70
	v_lshlrev_b32_e32 v17, 16, v21
	;; [unrolled: 2-line block ×3, first 2 shown]
	v_perm_b32 v21, v24, v23, s70
	v_accvgpr_read_b32 v56, a32
	v_accvgpr_read_b32 v27, a37
	;; [unrolled: 1-line block ×3, first 2 shown]
	v_or3_b32 v14, v15, v9, v4
	v_or3_b32 v15, v18, v8, v16
	v_or3_b32 v16, v22, v17, v19
	v_or3_b32 v17, v26, v20, v21
	global_store_dwordx4 v[12:13], v[14:17], off nt
	s_andn2_b64 exec, exec, s[64:65]
	s_cbranch_execnz .LBB4_474
; %bb.475:                              ;   in Loop: Header=BB4_397 Depth=1
	s_or_b64 exec, exec, s[64:65]
	scratch_load_dwordx2 v[14:15], off, s33 offset:176 ; 8-byte Folded Reload
	v_accvgpr_read_b32 v25, a7
	v_accvgpr_read_b32 v35, a17
	;; [unrolled: 1-line block ×27, first 2 shown]
	v_mov_b32_e32 v26, 1
	v_accvgpr_read_b32 v40, a44
	v_accvgpr_read_b32 v10, a3
.LBB4_476:                              ;   in Loop: Header=BB4_397 Depth=1
	s_or_b64 exec, exec, s[62:63]
	v_and_b32_e32 v2, 15, v10
	v_cndmask_b32_e32 v0, v7, v2, vcc
	v_cmp_ne_u32_e64 s[16:17], 0, v0
	s_mov_b64 s[18:19], 0
	v_mov_b32_e32 v4, 0
                                        ; implicit-def: $vgpr1
                                        ; implicit-def: $vgpr8
	s_and_saveexec_b64 s[20:21], s[16:17]
	s_cbranch_execz .LBB4_478
; %bb.477:                              ;   in Loop: Header=BB4_397 Depth=1
	v_sub_u32_e32 v2, v7, v2
	v_and_b32_e32 v1, 0x3ffffc00, v10
	v_cndmask_b32_e32 v2, 0, v2, vcc
	v_cmp_lt_i32_e32 vcc, 0, v6
	v_add_u32_e32 v4, v2, v1
	s_mov_b64 s[18:19], exec
	v_cndmask_b32_e32 v1, 0, v56, vcc
	v_sub_u32_e32 v1, v1, v6
	v_lshl_add_u32 v1, v1, 6, v5
	v_ashrrev_i32_e32 v2, 31, v1
	v_lshrrev_b32_e32 v2, 26, v2
	v_add_u32_e32 v2, v1, v2
	v_ashrrev_i32_e32 v8, 6, v2
.LBB4_478:                              ;   in Loop: Header=BB4_397 Depth=1
	s_or_b64 exec, exec, s[20:21]
	s_and_b64 s[16:17], s[18:19], exec
.LBB4_479:                              ;   in Loop: Header=BB4_397 Depth=1
	s_or_b64 exec, exec, s[60:61]
	s_and_saveexec_b64 s[60:61], s[16:17]
	s_cbranch_execz .LBB4_488
.LBB4_480:                              ;   in Loop: Header=BB4_397 Depth=1
	v_ashrrev_i32_e32 v2, 31, v0
	v_lshrrev_b32_e32 v2, 22, v2
	v_add_u32_e32 v2, v0, v2
	v_ashrrev_i32_e32 v7, 10, v2
	v_sub_u32_e32 v5, v7, v8
	v_ashrrev_i32_e32 v2, 31, v1
	v_cmp_lt_i32_e32 vcc, 0, v5
	v_lshrrev_b32_e32 v6, 26, v2
	s_and_saveexec_b64 s[62:63], vcc
	s_cbranch_execz .LBB4_484
; %bb.481:                              ;   in Loop: Header=BB4_397 Depth=1
	s_trap 2
	ds_read_b64 v[2:3], v0
	v_add_u32_e32 v9, v1, v6
	v_and_b32_e32 v9, 0xffffffc0, v9
	v_sub_u32_e32 v9, v1, v9
	v_lshlrev_b32_e32 v8, 10, v8
	v_accvgpr_write_b32 a3, v10
	v_accvgpr_write_b32 a42, v54
	;; [unrolled: 1-line block ×7, first 2 shown]
	v_add3_u32 v10, v4, v9, v8
	v_accvgpr_write_b32 a44, v40
	v_accvgpr_write_b32 a43, v55
	;; [unrolled: 1-line block ×9, first 2 shown]
	v_ashrrev_i32_e32 v11, 31, v10
	s_mov_b64 s[64:65], 0
	s_waitcnt lgkmcnt(0)
	v_mov_b64_e32 v[12:13], v[2:3]
.LBB4_482:                              ;   Parent Loop BB4_397 Depth=1
                                        ; =>  This Inner Loop Header: Depth=2
	v_lshl_add_u64 v[16:17], v[10:11], 0, v[12:13]
	s_waitcnt vmcnt(0)
	v_lshl_add_u64 v[14:15], v[10:11], 0, v[2:3]
	s_trap 2
	ds_read_b32 v29, v0
	v_lshl_add_u64 v[12:13], v[12:13], 0, v[38:39]
	v_lshl_add_u64 v[2:3], v[2:3], 0, v[38:39]
	flat_load_ubyte v34, v[16:17] nt
	flat_load_ubyte v35, v[16:17] offset:64 nt
	flat_load_ubyte v36, v[16:17] offset:128 nt
	flat_load_ubyte v37, v[16:17] offset:192 nt
	flat_load_ubyte v38, v[16:17] offset:256 nt
	flat_load_ubyte v39, v[16:17] offset:320 nt
	flat_load_ubyte v48, v[16:17] offset:384 nt
	flat_load_ubyte v49, v[16:17] offset:448 nt
	flat_load_ubyte v50, v[16:17] offset:512 nt
	flat_load_ubyte v51, v[16:17] offset:576 nt
	flat_load_ubyte v52, v[16:17] offset:640 nt
	flat_load_ubyte v53, v[16:17] offset:704 nt
	flat_load_ubyte v54, v[16:17] offset:768 nt
	flat_load_ubyte v55, v[16:17] offset:832 nt
	flat_load_ubyte v40, v[16:17] offset:896 nt
	s_nop 0
	flat_load_ubyte v16, v[16:17] offset:960 nt
	v_mov_b32_e32 v8, 0
	s_waitcnt lgkmcnt(0)
	v_and_b32_e32 v17, 0xff, v29
	v_cvt_f32_bf8_sdwa v17, v17 src0_sel:BYTE_0
	v_sub_u32_e32 v5, v5, v56
	v_mov_b32_e32 v9, 0
	v_cmp_gt_i32_e32 vcc, 1, v5
	v_mov_b32_e32 v18, 0
	v_mov_b32_e32 v21, 0
	;; [unrolled: 1-line block ×3, first 2 shown]
	s_or_b64 s[64:65], vcc, s[64:65]
	v_mov_b32_e32 v19, 0
	v_mov_b32_e32 v20, 0
	;; [unrolled: 1-line block ×11, first 2 shown]
	s_waitcnt vmcnt(0)
	v_cvt_f32_bf8_sdwa v29, v34 src0_sel:BYTE_0
	v_cvt_f32_bf8_sdwa v34, v35 src0_sel:BYTE_0
	;; [unrolled: 1-line block ×16, first 2 shown]
	v_mul_f32_e32 v29, v17, v29
	v_mul_f32_e32 v34, v17, v34
	;; [unrolled: 1-line block ×16, first 2 shown]
	v_med3_f32 v17, v29, s69, v30
	v_cmp_nlg_f32_e64 s[38:39], |v29|, s68
	v_med3_f32 v40, v34, s69, v30
	v_cmp_nlg_f32_e64 s[40:41], |v34|, s68
	v_cndmask_b32_e64 v17, v17, v29, s[38:39]
	v_med3_f32 v41, v35, s69, v30
	v_med3_f32 v44, v38, s69, v30
	v_cmp_nlg_f32_e64 s[18:19], |v38|, s68
	v_med3_f32 v45, v39, s69, v30
	v_cmp_nlg_f32_e64 s[20:21], |v39|, s68
	v_cndmask_b32_e64 v34, v40, v34, s[40:41]
	v_cmp_nlg_f32_e64 s[42:43], |v35|, s68
	v_cvt_pk_bf8_f32 v8, v17, v17
	v_med3_f32 v42, v36, s69, v30
	v_cmp_nlg_f32_e64 vcc, |v36|, s68
	v_med3_f32 v56, v50, s69, v30
	v_cmp_nlg_f32_e64 s[26:27], |v50|, s68
	v_med3_f32 v57, v51, s69, v30
	v_cmp_nlg_f32_e64 s[28:29], |v51|, s68
	v_cndmask_b32_e64 v35, v41, v35, s[42:43]
	v_cndmask_b32_e64 v38, v44, v38, s[18:19]
	;; [unrolled: 1-line block ×3, first 2 shown]
	v_cvt_pk_bf8_f32 v9, v34, v34
	v_med3_f32 v43, v37, s69, v30
	v_cmp_nlg_f32_e64 s[16:17], |v37|, s68
	v_med3_f32 v46, v48, s69, v30
	v_cmp_nlg_f32_e64 s[22:23], |v48|, s68
	;; [unrolled: 2-line block ×8, first 2 shown]
	v_cndmask_b32_e32 v36, v42, v36, vcc
	v_cndmask_b32_e64 v50, v56, v50, s[26:27]
	v_cndmask_b32_e64 v51, v57, v51, s[28:29]
	v_accvgpr_read_b32 v57, a33
	v_cvt_pk_bf8_f32 v18, v35, v35
	v_cvt_pk_bf8_f32 v21, v38, v38
	;; [unrolled: 1-line block ×3, first 2 shown]
	v_accvgpr_read_b32 v38, a38
	v_cndmask_b32_e64 v37, v43, v37, s[16:17]
	v_cndmask_b32_e64 v48, v46, v48, s[22:23]
	;; [unrolled: 1-line block ×3, first 2 shown]
	v_accvgpr_read_b32 v56, a32
	v_cndmask_b32_e64 v52, v58, v52, s[30:31]
	v_cndmask_b32_e64 v53, v59, v53, s[34:35]
	;; [unrolled: 1-line block ×5, first 2 shown]
	v_cvt_pk_bf8_f32 v19, v36, v36
	v_accvgpr_read_b32 v39, a39
	v_cvt_pk_bf8_f32 v20, v37, v37
	v_cvt_pk_bf8_f32 v23, v48, v48
	;; [unrolled: 1-line block ×10, first 2 shown]
	flat_store_byte v[14:15], v8 nt
	flat_store_byte v[14:15], v9 offset:64 nt
	flat_store_byte v[14:15], v18 offset:128 nt
	;; [unrolled: 1-line block ×15, first 2 shown]
	s_andn2_b64 exec, exec, s[64:65]
	s_cbranch_execnz .LBB4_482
; %bb.483:                              ;   in Loop: Header=BB4_397 Depth=1
	s_or_b64 exec, exec, s[64:65]
	scratch_load_dwordx2 v[14:15], off, s33 offset:176 ; 8-byte Folded Reload
	v_accvgpr_read_b32 v25, a7
	v_accvgpr_read_b32 v59, a9
	;; [unrolled: 1-line block ×31, first 2 shown]
	v_mov_b32_e32 v26, 1
	v_accvgpr_read_b32 v40, a44
	v_accvgpr_read_b32 v10, a3
.LBB4_484:                              ;   in Loop: Header=BB4_397 Depth=1
	s_or_b64 exec, exec, s[62:63]
	v_lshlrev_b32_e32 v2, 10, v7
	v_cmp_ne_u32_e32 vcc, v0, v2
	s_and_b64 exec, exec, vcc
	s_cbranch_execz .LBB4_488
; %bb.485:                              ;   in Loop: Header=BB4_397 Depth=1
	v_add_u32_e32 v3, v1, v6
	v_and_b32_e32 v3, 0xffffffc0, v3
	v_sub_u32_e32 v1, v1, v3
	v_lshlrev_b32_e32 v3, 6, v5
	v_sub_u32_e32 v1, v1, v3
	v_add_u32_e32 v2, v2, v1
	v_sub_u32_e32 v5, v0, v2
	v_cmp_lt_i32_e32 vcc, 0, v5
	s_and_b64 exec, exec, vcc
	s_cbranch_execz .LBB4_488
; %bb.486:                              ;   in Loop: Header=BB4_397 Depth=1
	s_trap 2
	ds_read_b64 v[0:1], v0
	v_add_u32_e32 v2, v2, v4
	v_ashrrev_i32_e32 v3, 31, v2
	s_mov_b64 s[16:17], 0
.LBB4_487:                              ;   Parent Loop BB4_397 Depth=1
                                        ; =>  This Inner Loop Header: Depth=2
	s_waitcnt lgkmcnt(0)
	v_lshl_add_u64 v[6:7], v[0:1], 0, v[2:3]
	s_trap 2
	flat_load_ubyte v4, v[6:7] nt
	ds_read_b32 v8, v0
	v_mov_b32_e32 v9, 0
	v_sub_u32_e32 v5, v5, v22
	v_lshl_add_u64 v[2:3], v[2:3], 0, v[22:23]
	s_waitcnt lgkmcnt(0)
	v_and_b32_e32 v8, 0xff, v8
	v_cvt_f32_bf8_sdwa v8, v8 src0_sel:BYTE_0
	s_waitcnt vmcnt(0)
	v_cvt_f32_bf8_sdwa v4, v4 src0_sel:BYTE_0
	s_nop 0
	v_mul_f32_e32 v4, v8, v4
	v_med3_f32 v8, v4, s69, v30
	v_cmp_nlg_f32_e64 vcc, |v4|, s68
	s_nop 1
	v_cndmask_b32_e32 v4, v8, v4, vcc
	v_cvt_pk_bf8_f32 v9, v4, v4
	v_cmp_gt_i32_e32 vcc, 1, v5
	s_or_b64 s[16:17], vcc, s[16:17]
	flat_store_byte v[6:7], v9 nt
	s_andn2_b64 exec, exec, s[16:17]
	s_cbranch_execnz .LBB4_487
.LBB4_488:                              ;   in Loop: Header=BB4_397 Depth=1
	s_or_b64 exec, exec, s[60:61]
	v_cmp_ne_u32_e64 s[16:17], 0, v10
.LBB4_489:                              ;   in Loop: Header=BB4_397 Depth=1
	s_and_saveexec_b64 s[18:19], s[4:5]
	s_cbranch_execz .LBB4_508
; %bb.490:                              ;   in Loop: Header=BB4_397 Depth=1
	s_and_saveexec_b64 s[20:21], s[52:53]
	s_xor_b64 s[20:21], exec, s[20:21]
	s_cbranch_execz .LBB4_505
; %bb.491:                              ;   in Loop: Header=BB4_397 Depth=1
	s_and_saveexec_b64 s[22:23], s[6:7]
	s_cbranch_execz .LBB4_504
; %bb.492:                              ;   in Loop: Header=BB4_397 Depth=1
	s_mov_b64 s[26:27], exec
	v_mbcnt_lo_u32_b32 v0, s26, 0
	v_mbcnt_hi_u32_b32 v0, s27, v0
	v_cmp_eq_u32_e32 vcc, 0, v0
	s_waitcnt lgkmcnt(0)
	s_and_saveexec_b64 s[24:25], vcc
	s_cbranch_execz .LBB4_494
; %bb.493:                              ;   in Loop: Header=BB4_397 Depth=1
	s_bcnt1_i32_b64 s26, s[26:27]
	v_mov_b32_e32 v0, s26
	v_mov_b32_e32 v1, v13
	ds_add_u64 v0, v[0:1]
	s_trap 2
.LBB4_494:                              ;   in Loop: Header=BB4_397 Depth=1
	s_or_b64 exec, exec, s[24:25]
	s_trap 2
	ds_read_b64 v[0:1], v0
	v_lshl_add_u64 v[16:17], v[16:17], 0, v[56:57]
	s_waitcnt lgkmcnt(0)
	v_cmp_lt_u64_e32 vcc, v[0:1], v[16:17]
	s_and_saveexec_b64 s[24:25], vcc
	s_cbranch_execz .LBB4_503
; %bb.495:                              ;   in Loop: Header=BB4_397 Depth=1
	s_mov_b32 s38, 0
	s_mov_b64 s[26:27], 0
                                        ; implicit-def: $sgpr28_sgpr29
                                        ; implicit-def: $sgpr30_sgpr31
	s_branch .LBB4_497
.LBB4_496:                              ;   in Loop: Header=BB4_497 Depth=2
	s_or_b64 exec, exec, s[36:37]
	s_and_b64 vcc, exec, vcc
	s_or_b64 s[26:27], vcc, s[26:27]
	s_andn2_b64 s[28:29], s[28:29], exec
	s_and_b64 vcc, s[30:31], exec
	s_or_b64 s[28:29], s[28:29], vcc
	s_andn2_b64 exec, exec, s[26:27]
	s_cbranch_execz .LBB4_501
.LBB4_497:                              ;   Parent Loop BB4_397 Depth=1
                                        ; =>  This Inner Loop Header: Depth=2
	s_add_i32 s38, s38, 1
	s_cmpk_lg_i32 s38, 0x2710
	s_cselect_b64 s[34:35], -1, 0
	s_and_b64 vcc, exec, s[34:35]
                                        ; implicit-def: $sgpr36_sgpr37
	s_cbranch_vccnz .LBB4_499
; %bb.498:                              ;   in Loop: Header=BB4_497 Depth=2
	s_trap 2
	ds_read_b64 v[0:1], v0
	s_andn2_b64 s[34:35], s[34:35], exec
	s_mov_b32 s38, 0
	s_mov_b64 s[36:37], -1
	s_waitcnt vmcnt(0) lgkmcnt(0)
	flat_load_dword v0, v[0:1] sc0 sc1
	s_waitcnt vmcnt(0) lgkmcnt(0)
	buffer_inv sc0 sc1
	v_cmp_eq_u32_e32 vcc, 0, v0
	s_and_b64 vcc, vcc, exec
	s_or_b64 s[34:35], s[34:35], vcc
.LBB4_499:                              ;   in Loop: Header=BB4_497 Depth=2
	s_andn2_b64 s[30:31], s[30:31], exec
	s_and_b64 s[36:37], s[36:37], exec
	s_mov_b64 vcc, -1
	s_or_b64 s[30:31], s[30:31], s[36:37]
	s_and_saveexec_b64 s[36:37], s[34:35]
	s_cbranch_execz .LBB4_496
; %bb.500:                              ;   in Loop: Header=BB4_497 Depth=2
	s_sleep 1
	s_trap 2
	ds_read_b64 v[0:1], v0
	s_andn2_b64 s[30:31], s[30:31], exec
	s_waitcnt lgkmcnt(0)
	v_cmp_ge_u64_e32 vcc, v[0:1], v[16:17]
	s_orn2_b64 vcc, vcc, exec
	s_branch .LBB4_496
.LBB4_501:                              ;   in Loop: Header=BB4_397 Depth=1
	s_or_b64 exec, exec, s[26:27]
	s_and_saveexec_b64 s[26:27], s[28:29]
	s_xor_b64 s[26:27], exec, s[26:27]
	s_cbranch_execz .LBB4_503
; %bb.502:                              ;   in Loop: Header=BB4_397 Depth=1
	ds_write_b32 v0, v26
	s_trap 2
.LBB4_503:                              ;   in Loop: Header=BB4_397 Depth=1
	s_or_b64 exec, exec, s[24:25]
	;;#ASMSTART
	s_wakeup
	;;#ASMEND
.LBB4_504:                              ;   in Loop: Header=BB4_397 Depth=1
	s_or_b64 exec, exec, s[22:23]
.LBB4_505:                              ;   in Loop: Header=BB4_397 Depth=1
	s_andn2_saveexec_b64 s[20:21], s[20:21]
	s_cbranch_execz .LBB4_507
; %bb.506:                              ;   in Loop: Header=BB4_397 Depth=1
	s_waitcnt lgkmcnt(0)
	s_barrier
.LBB4_507:                              ;   in Loop: Header=BB4_397 Depth=1
	s_or_b64 exec, exec, s[20:21]
.LBB4_508:                              ;   in Loop: Header=BB4_397 Depth=1
	s_or_b64 exec, exec, s[18:19]
	v_and_b32_e32 v0, 16, v62
	v_cmp_ne_u32_e32 vcc, 0, v0
	s_and_b64 s[18:19], vcc, s[16:17]
	s_and_saveexec_b64 s[16:17], s[18:19]
	s_cbranch_execz .LBB4_510
; %bb.509:                              ;   in Loop: Header=BB4_397 Depth=1
	buffer_wbl2 sc1
	s_waitcnt vmcnt(0) lgkmcnt(0)
	buffer_inv sc1
.LBB4_510:                              ;   in Loop: Header=BB4_397 Depth=1
	s_or_b64 exec, exec, s[16:17]
	v_cmp_ne_u32_e32 vcc, 0, v0
	s_and_saveexec_b64 s[16:17], vcc
	s_cbranch_execz .LBB4_514
; %bb.511:                              ;   in Loop: Header=BB4_397 Depth=1
	s_and_saveexec_b64 s[18:19], s[14:15]
	s_cbranch_execz .LBB4_513
; %bb.512:                              ;   in Loop: Header=BB4_397 Depth=1
	flat_store_dword v[52:53], v26 sc0 sc1
.LBB4_513:                              ;   in Loop: Header=BB4_397 Depth=1
	s_or_b64 exec, exec, s[18:19]
	v_lshl_add_u64 v[34:35], v[34:35], 0, 1
	flat_store_dwordx2 v[28:29], v[34:35] sc0 sc1
.LBB4_514:                              ;   in Loop: Header=BB4_397 Depth=1
	s_or_b64 exec, exec, s[16:17]
	v_mov_b32_e32 v2, v12
.LBB4_515:                              ;   in Loop: Header=BB4_397 Depth=1
	s_or_b64 exec, exec, s[58:59]
	s_and_saveexec_b64 s[18:19], s[56:57]
	s_cbranch_execz .LBB4_396
; %bb.516:                              ;   in Loop: Header=BB4_397 Depth=1
	v_and_b32_e32 v0, 8, v62
	v_cmp_ne_u32_e32 vcc, 0, v0
	s_mov_b64 s[20:21], -1
	v_lshl_add_u64 v[10:11], v[34:35], 0, 1
	s_and_saveexec_b64 s[16:17], vcc
	s_cbranch_execz .LBB4_528
; %bb.517:                              ;   in Loop: Header=BB4_397 Depth=1
	v_lshl_add_u64 v[4:5], v[50:51], 0, 8
	v_lshl_add_u64 v[0:1], v[34:35], 0, 1
	v_cmp_lt_u64_e32 vcc, v[4:5], v[0:1]
	v_mov_b32_e32 v3, 1
	s_and_saveexec_b64 s[20:21], vcc
	s_cbranch_execz .LBB4_527
; %bb.518:                              ;   in Loop: Header=BB4_397 Depth=1
	s_mov_b64 s[22:23], 0
	v_mov_b32_e32 v3, 0
                                        ; implicit-def: $sgpr24_sgpr25
	s_branch .LBB4_522
.LBB4_519:                              ;   in Loop: Header=BB4_522 Depth=2
	s_or_b64 exec, exec, s[34:35]
	v_mov_b32_e32 v4, 0
	s_orn2_b64 s[30:31], s[30:31], exec
.LBB4_520:                              ;   in Loop: Header=BB4_522 Depth=2
	s_or_b64 exec, exec, s[28:29]
	s_andn2_b64 s[24:25], s[24:25], exec
	s_and_b64 s[28:29], s[30:31], exec
	s_or_b64 s[24:25], s[24:25], s[28:29]
	v_mov_b32_e32 v3, v4
.LBB4_521:                              ;   in Loop: Header=BB4_522 Depth=2
	s_or_b64 exec, exec, s[26:27]
	s_waitcnt vmcnt(0) lgkmcnt(0)
	v_lshl_add_u64 v[4:5], v[50:51], 0, 8
	v_cmp_ge_u64_e32 vcc, v[4:5], v[0:1]
	s_xor_b64 s[26:27], s[24:25], -1
	s_or_b64 s[26:27], s[26:27], vcc
	s_and_b64 s[26:27], exec, s[26:27]
	s_or_b64 s[22:23], s[26:27], s[22:23]
	s_andn2_b64 exec, exec, s[22:23]
	s_cbranch_execz .LBB4_526
.LBB4_522:                              ;   Parent Loop BB4_397 Depth=1
                                        ; =>  This Inner Loop Header: Depth=2
	s_sleep 1
	flat_load_dwordx2 v[50:51], v[28:29] sc0 sc1
	v_and_b32_e32 v4, 64, v62
	v_cmp_eq_u32_e32 vcc, 0, v4
	s_andn2_b64 s[24:25], s[24:25], exec
	s_and_saveexec_b64 s[26:27], vcc
	s_cbranch_execz .LBB4_521
; %bb.523:                              ;   in Loop: Header=BB4_522 Depth=2
	v_add_u32_e32 v4, 1, v3
	v_cmp_lt_i32_e32 vcc, s67, v3
	s_mov_b64 s[30:31], -1
	s_and_saveexec_b64 s[28:29], vcc
	s_cbranch_execz .LBB4_520
; %bb.524:                              ;   in Loop: Header=BB4_522 Depth=2
	s_trap 2
	ds_read_b64 v[4:5], v0
	s_waitcnt vmcnt(0) lgkmcnt(0)
	flat_load_dword v3, v[4:5] sc0 sc1
	s_waitcnt vmcnt(0) lgkmcnt(0)
	buffer_inv sc0 sc1
	v_cmp_ne_u32_e32 vcc, 0, v3
	s_and_saveexec_b64 s[34:35], vcc
	s_cbranch_execz .LBB4_519
; %bb.525:                              ;   in Loop: Header=BB4_522 Depth=2
	v_or_b32_e32 v62, 64, v62
	s_xor_b64 s[30:31], exec, -1
	ds_write_b32 v0, v3
	s_trap 2
	s_branch .LBB4_519
.LBB4_526:                              ;   in Loop: Header=BB4_397 Depth=1
	s_or_b64 exec, exec, s[22:23]
	v_and_b32_e32 v3, 8, v62
.LBB4_527:                              ;   in Loop: Header=BB4_397 Depth=1
	s_or_b64 exec, exec, s[20:21]
	v_cmp_eq_u32_e32 vcc, 0, v3
	s_orn2_b64 s[20:21], vcc, exec
	;;#ASMSTART
	s_wakeup
	;;#ASMEND
.LBB4_528:                              ;   in Loop: Header=BB4_397 Depth=1
	s_or_b64 exec, exec, s[16:17]
	v_sub_u32_e32 v0, v40, v2
	s_xor_b64 s[16:17], s[20:21], -1
	v_min_i32_e32 v2, v12, v0
	s_and_saveexec_b64 s[20:21], s[16:17]
	s_cbranch_execz .LBB4_538
; %bb.529:                              ;   in Loop: Header=BB4_397 Depth=1
	v_and_b32_e32 v0, 0x100, v62
	v_cmp_ne_u32_e32 vcc, 0, v0
	v_and_b32_e32 v4, 7, v34
	s_mov_b64 s[16:17], -1
                                        ; implicit-def: $vgpr0_vgpr1
	s_and_saveexec_b64 s[22:23], vcc
	s_cbranch_execz .LBB4_533
; %bb.530:                              ;   in Loop: Header=BB4_397 Depth=1
	v_mad_u64_u32 v[8:9], s[16:17], v4, 24, v[32:33]
	flat_load_dword v0, v[8:9]
	v_ashrrev_i32_e32 v3, 31, v2
	flat_store_dwordx2 v[8:9], v[2:3] offset:8
	s_waitcnt vmcnt(0) lgkmcnt(0)
	v_cmp_ne_u32_e32 vcc, 1, v0
	v_cmp_eq_u32_e64 s[16:17], 1, v0
                                        ; implicit-def: $vgpr0_vgpr1
	s_and_saveexec_b64 s[24:25], s[16:17]
	s_cbranch_execz .LBB4_532
; %bb.531:                              ;   in Loop: Header=BB4_397 Depth=1
	flat_load_dword v0, v[8:9] offset:4 sc0 sc1
	s_waitcnt vmcnt(0) lgkmcnt(0)
	v_ashrrev_i32_e32 v1, 31, v0
.LBB4_532:                              ;   in Loop: Header=BB4_397 Depth=1
	s_or_b64 exec, exec, s[24:25]
	s_orn2_b64 s[16:17], vcc, exec
.LBB4_533:                              ;   in Loop: Header=BB4_397 Depth=1
	s_or_b64 exec, exec, s[22:23]
	s_and_saveexec_b64 s[22:23], s[16:17]
; %bb.534:                              ;   in Loop: Header=BB4_397 Depth=1
	v_mad_i64_i32 v[0:1], s[16:17], v4, v36, 0
; %bb.535:                              ;   in Loop: Header=BB4_397 Depth=1
	s_or_b64 exec, exec, s[22:23]
	v_lshl_add_u64 v[0:1], v[48:49], 0, v[0:1]
	ds_write_b64 v0, v[0:1] offset:784
	v_and_b32_e32 v0, 0x2000, v62
	v_cmp_ne_u32_e32 vcc, 0, v0
	s_and_saveexec_b64 s[16:17], vcc
	s_cbranch_execz .LBB4_537
; %bb.536:                              ;   in Loop: Header=BB4_397 Depth=1
	ds_read_b64 v[0:1], v0 offset:584
	s_waitcnt lgkmcnt(0)
	v_lshl_add_u64 v[0:1], v[0:1], 0, 1
	ds_write_b64 v0, v[0:1] offset:584
.LBB4_537:                              ;   in Loop: Header=BB4_397 Depth=1
	s_or_b64 exec, exec, s[16:17]
	v_mov_b64_e32 v[34:35], v[10:11]
.LBB4_538:                              ;   in Loop: Header=BB4_397 Depth=1
	s_or_b64 exec, exec, s[20:21]
	s_and_saveexec_b64 s[16:17], s[4:5]
	s_cbranch_execz .LBB4_557
; %bb.539:                              ;   in Loop: Header=BB4_397 Depth=1
	s_and_saveexec_b64 s[20:21], s[52:53]
	s_xor_b64 s[20:21], exec, s[20:21]
	s_cbranch_execz .LBB4_554
; %bb.540:                              ;   in Loop: Header=BB4_397 Depth=1
	s_and_saveexec_b64 s[22:23], s[6:7]
	s_cbranch_execz .LBB4_553
; %bb.541:                              ;   in Loop: Header=BB4_397 Depth=1
	s_mov_b64 s[26:27], exec
	v_mbcnt_lo_u32_b32 v0, s26, 0
	v_mbcnt_hi_u32_b32 v0, s27, v0
	v_cmp_eq_u32_e32 vcc, 0, v0
	s_waitcnt lgkmcnt(0)
	s_and_saveexec_b64 s[24:25], vcc
	s_cbranch_execz .LBB4_543
; %bb.542:                              ;   in Loop: Header=BB4_397 Depth=1
	s_bcnt1_i32_b64 s26, s[26:27]
	v_mov_b32_e32 v12, s26
	ds_add_u64 v0, v[12:13]
	s_trap 2
.LBB4_543:                              ;   in Loop: Header=BB4_397 Depth=1
	s_or_b64 exec, exec, s[24:25]
	s_trap 2
	ds_read_b64 v[0:1], v0
	v_lshl_add_u64 v[16:17], v[16:17], 0, v[56:57]
	s_waitcnt lgkmcnt(0)
	v_cmp_lt_u64_e32 vcc, v[0:1], v[16:17]
	s_and_saveexec_b64 s[24:25], vcc
	s_cbranch_execz .LBB4_552
; %bb.544:                              ;   in Loop: Header=BB4_397 Depth=1
	s_mov_b32 s38, 0
	s_mov_b64 s[26:27], 0
                                        ; implicit-def: $sgpr28_sgpr29
                                        ; implicit-def: $sgpr30_sgpr31
	s_branch .LBB4_546
.LBB4_545:                              ;   in Loop: Header=BB4_546 Depth=2
	s_or_b64 exec, exec, s[36:37]
	s_and_b64 vcc, exec, vcc
	s_or_b64 s[26:27], vcc, s[26:27]
	s_andn2_b64 s[28:29], s[28:29], exec
	s_and_b64 vcc, s[30:31], exec
	s_or_b64 s[28:29], s[28:29], vcc
	s_andn2_b64 exec, exec, s[26:27]
	s_cbranch_execz .LBB4_550
.LBB4_546:                              ;   Parent Loop BB4_397 Depth=1
                                        ; =>  This Inner Loop Header: Depth=2
	s_add_i32 s38, s38, 1
	s_cmpk_lg_i32 s38, 0x2710
	s_cselect_b64 s[34:35], -1, 0
	s_and_b64 vcc, exec, s[34:35]
                                        ; implicit-def: $sgpr36_sgpr37
	s_cbranch_vccnz .LBB4_548
; %bb.547:                              ;   in Loop: Header=BB4_546 Depth=2
	s_trap 2
	ds_read_b64 v[0:1], v0
	s_andn2_b64 s[34:35], s[34:35], exec
	s_mov_b32 s38, 0
	s_mov_b64 s[36:37], -1
	s_waitcnt vmcnt(0) lgkmcnt(0)
	flat_load_dword v0, v[0:1] sc0 sc1
	s_waitcnt vmcnt(0) lgkmcnt(0)
	buffer_inv sc0 sc1
	v_cmp_eq_u32_e32 vcc, 0, v0
	s_and_b64 vcc, vcc, exec
	s_or_b64 s[34:35], s[34:35], vcc
.LBB4_548:                              ;   in Loop: Header=BB4_546 Depth=2
	s_andn2_b64 s[30:31], s[30:31], exec
	s_and_b64 s[36:37], s[36:37], exec
	s_mov_b64 vcc, -1
	s_or_b64 s[30:31], s[30:31], s[36:37]
	s_and_saveexec_b64 s[36:37], s[34:35]
	s_cbranch_execz .LBB4_545
; %bb.549:                              ;   in Loop: Header=BB4_546 Depth=2
	s_sleep 1
	s_trap 2
	ds_read_b64 v[0:1], v0
	s_andn2_b64 s[30:31], s[30:31], exec
	s_waitcnt lgkmcnt(0)
	v_cmp_ge_u64_e32 vcc, v[0:1], v[16:17]
	s_orn2_b64 vcc, vcc, exec
	s_branch .LBB4_545
.LBB4_550:                              ;   in Loop: Header=BB4_397 Depth=1
	s_or_b64 exec, exec, s[26:27]
	s_and_saveexec_b64 s[26:27], s[28:29]
	s_xor_b64 s[26:27], exec, s[26:27]
	s_cbranch_execz .LBB4_552
; %bb.551:                              ;   in Loop: Header=BB4_397 Depth=1
	ds_write_b32 v0, v26
	s_trap 2
.LBB4_552:                              ;   in Loop: Header=BB4_397 Depth=1
	s_or_b64 exec, exec, s[24:25]
	;;#ASMSTART
	s_wakeup
	;;#ASMEND
.LBB4_553:                              ;   in Loop: Header=BB4_397 Depth=1
	s_or_b64 exec, exec, s[22:23]
.LBB4_554:                              ;   in Loop: Header=BB4_397 Depth=1
	s_andn2_saveexec_b64 s[20:21], s[20:21]
	s_cbranch_execz .LBB4_556
; %bb.555:                              ;   in Loop: Header=BB4_397 Depth=1
	s_waitcnt lgkmcnt(0)
	s_barrier
.LBB4_556:                              ;   in Loop: Header=BB4_397 Depth=1
	s_or_b64 exec, exec, s[20:21]
.LBB4_557:                              ;   in Loop: Header=BB4_397 Depth=1
	s_or_b64 exec, exec, s[16:17]
	s_trap 2
	ds_read_b32 v1, v0
	v_cmp_lt_i32_e32 vcc, 0, v2
	v_and_b32_e32 v0, 16, v62
	s_waitcnt lgkmcnt(0)
	v_readfirstlane_b32 s16, v1
	s_cmp_eq_u32 s16, 0
	s_cselect_b64 s[16:17], -1, 0
	s_and_b64 s[16:17], vcc, s[16:17]
	v_cmp_ne_u32_e32 vcc, 0, v0
	s_and_b64 s[20:21], vcc, s[16:17]
	s_and_saveexec_b64 s[16:17], s[20:21]
	s_cbranch_execz .LBB4_559
; %bb.558:                              ;   in Loop: Header=BB4_397 Depth=1
	buffer_wbl2 sc1
	s_waitcnt vmcnt(0)
	buffer_inv sc1
.LBB4_559:                              ;   in Loop: Header=BB4_397 Depth=1
	s_or_b64 exec, exec, s[16:17]
	v_cmp_ne_u32_e32 vcc, 0, v0
	s_and_saveexec_b64 s[16:17], vcc
	s_cbranch_execz .LBB4_395
; %bb.560:                              ;   in Loop: Header=BB4_397 Depth=1
	s_and_saveexec_b64 s[20:21], s[14:15]
	s_cbranch_execz .LBB4_394
; %bb.561:                              ;   in Loop: Header=BB4_397 Depth=1
	flat_store_dword v[52:53], v26 sc0 sc1
	s_branch .LBB4_394
.LBB4_562:
	s_or_b64 exec, exec, s[50:51]
	v_accvgpr_read_b32 v27, a13
	v_accvgpr_read_b32 v22, a0
	;; [unrolled: 1-line block ×3, first 2 shown]
.LBB4_563:
	s_or_b64 exec, exec, s[48:49]
.LBB4_564:
	s_or_b64 exec, exec, s[46:47]
	v_and_b32_e32 v0, 0x800, v62
	v_cmp_eq_u32_e32 vcc, 0, v0
	s_and_saveexec_b64 s[0:1], vcc
	s_cbranch_execz .LBB4_599
; %bb.565:
	v_and_b32_e32 v0, 48, v62
	v_cmp_ne_u32_e32 vcc, 0, v0
	s_and_saveexec_b64 s[2:3], vcc
	s_cbranch_execz .LBB4_567
; %bb.566:
	s_waitcnt vmcnt(0) lgkmcnt(0)
	flat_store_dwordx2 v[26:27], v[34:35] offset:104
.LBB4_567:
	s_or_b64 exec, exec, s[2:3]
	s_movk_i32 s2, 0x88
	v_and_b32_e32 v0, 0x88, v62
	v_cmp_eq_u32_e32 vcc, s2, v0
	s_and_saveexec_b64 s[2:3], vcc
	s_cbranch_execz .LBB4_579
; %bb.568:
	s_waitcnt vmcnt(0) lgkmcnt(0)
	v_add_u32_e32 v0, -1, v34
	v_and_b32_e32 v0, 7, v0
	v_mad_u64_u32 v[0:1], s[4:5], v0, 24, v[32:33]
	v_lshl_add_u64 v[2:3], v[0:1], 0, 8
	s_mov_b64 s[4:5], 0
	v_mov_b32_e32 v0, 0
	s_movk_i32 s20, 0x270e
                                        ; implicit-def: $sgpr6_sgpr7
	s_branch .LBB4_573
.LBB4_569:                              ;   in Loop: Header=BB4_573 Depth=1
	s_or_b64 exec, exec, s[18:19]
	v_mov_b32_e32 v1, 0
	s_orn2_b64 s[16:17], s[16:17], exec
.LBB4_570:                              ;   in Loop: Header=BB4_573 Depth=1
	s_or_b64 exec, exec, s[14:15]
	s_and_b64 s[14:15], s[16:17], exec
	v_mov_b32_e32 v0, v1
.LBB4_571:                              ;   in Loop: Header=BB4_573 Depth=1
	s_or_b64 exec, exec, s[12:13]
	s_xor_b64 s[12:13], s[14:15], -1
	s_andn2_b64 s[6:7], s[6:7], exec
	s_and_b64 s[12:13], s[12:13], exec
	s_or_b64 s[6:7], s[6:7], s[12:13]
.LBB4_572:                              ;   in Loop: Header=BB4_573 Depth=1
	s_or_b64 exec, exec, s[10:11]
	s_and_b64 s[10:11], exec, s[6:7]
	s_or_b64 s[4:5], s[10:11], s[4:5]
	s_andn2_b64 exec, exec, s[4:5]
	s_cbranch_execz .LBB4_578
.LBB4_573:                              ; =>This Inner Loop Header: Depth=1
	flat_load_dwordx2 v[4:5], v[2:3] sc0 sc1
	s_waitcnt vmcnt(0)
	s_or_b64 s[6:7], s[6:7], exec
	s_waitcnt lgkmcnt(0)
	v_cmp_ne_u64_e32 vcc, -1, v[4:5]
	s_and_saveexec_b64 s[10:11], vcc
	s_cbranch_execz .LBB4_572
; %bb.574:                              ;   in Loop: Header=BB4_573 Depth=1
	v_and_b32_e32 v1, 64, v62
	v_cmp_eq_u32_e32 vcc, 0, v1
	s_mov_b64 s[14:15], 0
	s_and_saveexec_b64 s[12:13], vcc
	s_cbranch_execz .LBB4_571
; %bb.575:                              ;   in Loop: Header=BB4_573 Depth=1
	v_add_u32_e32 v1, 1, v0
	v_cmp_lt_i32_e32 vcc, s20, v0
	s_mov_b64 s[16:17], -1
	s_and_saveexec_b64 s[14:15], vcc
	s_cbranch_execz .LBB4_570
; %bb.576:                              ;   in Loop: Header=BB4_573 Depth=1
	s_trap 2
	ds_read_b64 v[0:1], v0
	s_waitcnt lgkmcnt(0)
	flat_load_dword v0, v[0:1] sc0 sc1
	s_waitcnt vmcnt(0) lgkmcnt(0)
	buffer_inv sc0 sc1
	v_cmp_ne_u32_e32 vcc, 0, v0
	s_and_saveexec_b64 s[18:19], vcc
	s_cbranch_execz .LBB4_569
; %bb.577:                              ;   in Loop: Header=BB4_573 Depth=1
	v_or_b32_e32 v62, 64, v62
	s_xor_b64 s[16:17], exec, -1
	ds_write_b32 v0, v0
	s_trap 2
	s_branch .LBB4_569
.LBB4_578:
	s_or_b64 exec, exec, s[4:5]
.LBB4_579:
	s_or_b64 exec, exec, s[2:3]
	v_and_b32_e32 v0, 0x2000, v62
	v_cmp_ne_u32_e32 vcc, 0, v0
	s_and_saveexec_b64 s[2:3], vcc
	s_cbranch_execz .LBB4_581
; %bb.580:
	s_trap 2
	ds_read_b64 v[0:1], v0
	v_accvgpr_read_b32 v2, a10
	v_accvgpr_read_b32 v3, a11
	s_waitcnt lgkmcnt(0)
	flat_store_dwordx2 v[2:3], v[0:1] offset:16
.LBB4_581:
	s_or_b64 exec, exec, s[2:3]
	v_cmp_ne_u32_e32 vcc, 64, v22
	s_and_b64 exec, exec, vcc
	s_cbranch_execz .LBB4_599
; %bb.582:
	s_waitcnt vmcnt(0)
	v_accvgpr_read_b32 v0, a2
	v_cmp_ne_u32_sdwa s[2:3], v0, v22 src0_sel:WORD_0 src1_sel:DWORD
	s_and_saveexec_b64 s[4:5], s[2:3]
	s_xor_b64 s[2:3], exec, s[4:5]
	s_cbranch_execz .LBB4_597
; %bb.583:
	v_accvgpr_read_b32 v0, a1
	v_and_b32_e32 v0, 63, v0
	v_cmp_eq_u32_e32 vcc, 0, v0
	s_and_saveexec_b64 s[4:5], vcc
	s_cbranch_execz .LBB4_596
; %bb.584:
	s_mov_b64 s[10:11], exec
	v_mbcnt_lo_u32_b32 v0, s10, 0
	v_mbcnt_hi_u32_b32 v0, s11, v0
	v_cmp_eq_u32_e32 vcc, 0, v0
	s_waitcnt lgkmcnt(0)
	s_and_saveexec_b64 s[6:7], vcc
	s_cbranch_execz .LBB4_586
; %bb.585:
	s_bcnt1_i32_b64 s10, s[10:11]
	v_mov_b32_e32 v0, s10
	v_mov_b32_e32 v1, 0
	ds_add_u64 v0, v[0:1]
	s_trap 2
.LBB4_586:
	s_or_b64 exec, exec, s[6:7]
	v_ashrrev_i32_e32 v0, 31, v22
	v_lshrrev_b32_e32 v0, 26, v0
	s_trap 2
	ds_read_b64 v[2:3], v0
	v_add_u32_e32 v0, v22, v0
	v_ashrrev_i32_e32 v0, 6, v0
	v_ashrrev_i32_e32 v1, 31, v0
	v_lshl_add_u64 v[0:1], v[16:17], 0, v[0:1]
	s_waitcnt lgkmcnt(0)
	v_cmp_lt_u64_e32 vcc, v[2:3], v[0:1]
	s_and_saveexec_b64 s[6:7], vcc
	s_cbranch_execz .LBB4_595
; %bb.587:
	s_mov_b32 s22, 0
	s_mov_b64 s[10:11], 0
                                        ; implicit-def: $sgpr12_sgpr13
                                        ; implicit-def: $sgpr14_sgpr15
	s_branch .LBB4_589
.LBB4_588:                              ;   in Loop: Header=BB4_589 Depth=1
	s_or_b64 exec, exec, s[20:21]
	s_and_b64 s[16:17], exec, s[18:19]
	s_or_b64 s[10:11], s[16:17], s[10:11]
	s_andn2_b64 s[12:13], s[12:13], exec
	s_and_b64 s[16:17], s[14:15], exec
	s_or_b64 s[12:13], s[12:13], s[16:17]
	s_andn2_b64 exec, exec, s[10:11]
	s_cbranch_execz .LBB4_593
.LBB4_589:                              ; =>This Inner Loop Header: Depth=1
	s_add_i32 s22, s22, 1
	s_cmpk_lg_i32 s22, 0x2710
	s_cselect_b64 s[16:17], -1, 0
	s_and_b64 vcc, exec, s[16:17]
                                        ; implicit-def: $sgpr20_sgpr21
	s_cbranch_vccnz .LBB4_591
; %bb.590:                              ;   in Loop: Header=BB4_589 Depth=1
	s_trap 2
	ds_read_b64 v[2:3], v0
	s_andn2_b64 s[16:17], s[16:17], exec
	s_mov_b32 s22, 0
	s_mov_b64 s[20:21], -1
	s_waitcnt lgkmcnt(0)
	flat_load_dword v2, v[2:3] sc0 sc1
	s_waitcnt vmcnt(0) lgkmcnt(0)
	buffer_inv sc0 sc1
	v_cmp_eq_u32_e32 vcc, 0, v2
	s_and_b64 s[18:19], vcc, exec
	s_or_b64 s[16:17], s[16:17], s[18:19]
.LBB4_591:                              ;   in Loop: Header=BB4_589 Depth=1
	s_andn2_b64 s[14:15], s[14:15], exec
	s_and_b64 s[20:21], s[20:21], exec
	s_mov_b64 s[18:19], -1
	s_or_b64 s[14:15], s[14:15], s[20:21]
	s_and_saveexec_b64 s[20:21], s[16:17]
	s_cbranch_execz .LBB4_588
; %bb.592:                              ;   in Loop: Header=BB4_589 Depth=1
	s_sleep 1
	s_trap 2
	ds_read_b64 v[2:3], v0
	s_andn2_b64 s[14:15], s[14:15], exec
	s_waitcnt lgkmcnt(0)
	v_cmp_ge_u64_e32 vcc, v[2:3], v[0:1]
	s_orn2_b64 s[18:19], vcc, exec
	s_branch .LBB4_588
.LBB4_593:
	s_or_b64 exec, exec, s[10:11]
	s_and_saveexec_b64 s[10:11], s[12:13]
	s_xor_b64 s[10:11], exec, s[10:11]
	s_cbranch_execz .LBB4_595
; %bb.594:
	v_mov_b32_e32 v0, 1
	ds_write_b32 v0, v0
	s_trap 2
.LBB4_595:
	s_or_b64 exec, exec, s[6:7]
	;;#ASMSTART
	s_wakeup
	;;#ASMEND
.LBB4_596:
	s_or_b64 exec, exec, s[4:5]
.LBB4_597:
	s_andn2_saveexec_b64 s[2:3], s[2:3]
	s_cbranch_execz .LBB4_599
; %bb.598:
	s_waitcnt lgkmcnt(0)
	s_barrier
.LBB4_599:
	s_or_b64 exec, exec, s[0:1]
.LBB4_600:
	s_andn2_saveexec_b64 s[22:23], s[44:45]
	s_cbranch_execz .LBB4_602
; %bb.601:
	s_getpc_b64 s[0:1]
	s_add_u32 s0, s0, __PRETTY_FUNCTION__._ZN10PrimitivesI19__hip_fp8_e5m2_fnuz13FuncPreMulSumIS0_E12FanSymmetricILi1EELi0E11ProtoSimpleILi1ELi1ELi0ELi2ELi0ELi0EELi0ELb0ELi0ELi0ELi0EEC2EiiPKiS9_PKvPvmhhhP15ncclDevWorkCollP14ncclDevWorkP2pii@rel32@lo+4
	s_addc_u32 s1, s1, __PRETTY_FUNCTION__._ZN10PrimitivesI19__hip_fp8_e5m2_fnuz13FuncPreMulSumIS0_E12FanSymmetricILi1EELi0E11ProtoSimpleILi1ELi1ELi0ELi2ELi0ELi0EELi0ELb0ELi0ELi0ELi0EEC2EiiPKiS9_PKvPvmhhhP15ncclDevWorkCollP14ncclDevWorkP2pii@rel32@hi+12
	v_mov_b32_e32 v0, s0
	v_mov_b32_e32 v1, s1
	s_getpc_b64 s[2:3]
	s_add_u32 s2, s2, __assert_fail@rel32@lo+4
	s_addc_u32 s3, s3, __assert_fail@rel32@hi+12
	s_swappc_b64 s[30:31], s[2:3]
	; divergent unreachable
.LBB4_602:
	s_or_b64 exec, exec, s[22:23]
	scratch_load_dword a60, off, s33        ; 4-byte Folded Reload
	scratch_load_dword a59, off, s33 offset:4 ; 4-byte Folded Reload
	scratch_load_dword a58, off, s33 offset:8 ; 4-byte Folded Reload
	scratch_load_dword a57, off, s33 offset:12 ; 4-byte Folded Reload
	scratch_load_dword a56, off, s33 offset:16 ; 4-byte Folded Reload
	scratch_load_dword a55, off, s33 offset:20 ; 4-byte Folded Reload
	scratch_load_dword a54, off, s33 offset:24 ; 4-byte Folded Reload
	scratch_load_dword a53, off, s33 offset:28 ; 4-byte Folded Reload
	scratch_load_dword a52, off, s33 offset:32 ; 4-byte Folded Reload
	scratch_load_dword a51, off, s33 offset:36 ; 4-byte Folded Reload
	scratch_load_dword a50, off, s33 offset:40 ; 4-byte Folded Reload
	scratch_load_dword a49, off, s33 offset:44 ; 4-byte Folded Reload
	scratch_load_dword a48, off, s33 offset:48 ; 4-byte Folded Reload
	scratch_load_dword a47, off, s33 offset:52 ; 4-byte Folded Reload
	scratch_load_dword a46, off, s33 offset:56 ; 4-byte Folded Reload
	scratch_load_dword a45, off, s33 offset:60 ; 4-byte Folded Reload
	scratch_load_dword a44, off, s33 offset:64 ; 4-byte Folded Reload
	scratch_load_dword a43, off, s33 offset:68 ; 4-byte Folded Reload
	scratch_load_dword a42, off, s33 offset:72 ; 4-byte Folded Reload
	scratch_load_dword a41, off, s33 offset:76 ; 4-byte Folded Reload
	scratch_load_dword a40, off, s33 offset:80 ; 4-byte Folded Reload
	scratch_load_dword a39, off, s33 offset:84 ; 4-byte Folded Reload
	scratch_load_dword a38, off, s33 offset:88 ; 4-byte Folded Reload
	scratch_load_dword a37, off, s33 offset:92 ; 4-byte Folded Reload
	scratch_load_dword a36, off, s33 offset:96 ; 4-byte Folded Reload
	scratch_load_dword a35, off, s33 offset:100 ; 4-byte Folded Reload
	scratch_load_dword a34, off, s33 offset:104 ; 4-byte Folded Reload
	scratch_load_dword a33, off, s33 offset:108 ; 4-byte Folded Reload
	scratch_load_dword a32, off, s33 offset:112 ; 4-byte Folded Reload
	scratch_load_dword v62, off, s33 offset:116 ; 4-byte Folded Reload
	scratch_load_dword v61, off, s33 offset:120 ; 4-byte Folded Reload
	scratch_load_dword v60, off, s33 offset:124 ; 4-byte Folded Reload
	scratch_load_dword v59, off, s33 offset:128 ; 4-byte Folded Reload
	scratch_load_dword v58, off, s33 offset:132 ; 4-byte Folded Reload
	scratch_load_dword v57, off, s33 offset:136 ; 4-byte Folded Reload
	scratch_load_dword v56, off, s33 offset:140 ; 4-byte Folded Reload
	scratch_load_dword v47, off, s33 offset:144 ; 4-byte Folded Reload
	scratch_load_dword v46, off, s33 offset:148 ; 4-byte Folded Reload
	scratch_load_dword v45, off, s33 offset:152 ; 4-byte Folded Reload
	scratch_load_dword v44, off, s33 offset:156 ; 4-byte Folded Reload
	scratch_load_dword v43, off, s33 offset:160 ; 4-byte Folded Reload
	scratch_load_dword v42, off, s33 offset:164 ; 4-byte Folded Reload
	scratch_load_dword v41, off, s33 offset:168 ; 4-byte Folded Reload
	scratch_load_dword v40, off, s33 offset:172 ; 4-byte Folded Reload
	v_readlane_b32 s30, v63, 45
	v_readlane_b32 s31, v63, 46
	;; [unrolled: 1-line block ×48, first 2 shown]
	s_or_saveexec_b64 s[2:3], -1
	scratch_load_dword v63, off, s33 offset:184 ; 4-byte Folded Reload
	s_mov_b64 exec, s[2:3]
	s_addk_i32 s32, 0xff40
	s_mov_b32 s33, s0
	s_waitcnt vmcnt(0) lgkmcnt(0)
	s_setpc_b64 s[30:31]
.Lfunc_end4:
	.size	_ZN12_GLOBAL__N_17runRingI19__hip_fp8_e5m2_fnuz13FuncPreMulSumIS1_E11ProtoSimpleILi1ELi1ELi0ELi2ELi0ELi0EELi0ELi2ELi0EEEviiP15ncclDevWorkColl, .Lfunc_end4-_ZN12_GLOBAL__N_17runRingI19__hip_fp8_e5m2_fnuz13FuncPreMulSumIS1_E11ProtoSimpleILi1ELi1ELi0ELi2ELi0ELi0EELi0ELi2ELi0EEEviiP15ncclDevWorkColl
                                        ; -- End function
	.section	.AMDGPU.csdata,"",@progbits
; Function info:
; codeLenInByte = 42480
; NumSgprs: 85
; NumVgprs: 64
; NumAgprs: 61
; TotalNumVgprs: 125
; ScratchSize: 256
; MemoryBound: 1
	.text
	.p2align	2                               ; -- Begin function _Z53ncclDevFunc_Reduce_RING_SIMPLE_PreMulSum_f8e5m2_0_0_2v
	.type	_Z53ncclDevFunc_Reduce_RING_SIMPLE_PreMulSum_f8e5m2_0_0_2v,@function
_Z53ncclDevFunc_Reduce_RING_SIMPLE_PreMulSum_f8e5m2_0_0_2v: ; @_Z53ncclDevFunc_Reduce_RING_SIMPLE_PreMulSum_f8e5m2_0_0_2v
; %bb.0:
	s_waitcnt vmcnt(0) expcnt(0) lgkmcnt(0)
	s_mov_b32 s0, s33
	s_mov_b32 s33, s32
	s_or_saveexec_b64 s[2:3], -1
	scratch_store_dword off, v43, s33 offset:16 ; 4-byte Folded Spill
	s_mov_b64 exec, s[2:3]
	v_writelane_b32 v43, s0, 55
	s_add_i32 s32, s32, 32
	scratch_store_dword off, v40, s33 offset:12 ; 4-byte Folded Spill
	scratch_store_dword off, v41, s33 offset:8 ; 4-byte Folded Spill
	;; [unrolled: 1-line block ×3, first 2 shown]
	scratch_store_dword off, v63, s33       ; 4-byte Folded Spill
	v_writelane_b32 v43, s34, 0
	v_writelane_b32 v43, s35, 1
	;; [unrolled: 1-line block ×54, first 2 shown]
	s_nop 1
	v_writelane_b32 v43, s31, 54
	s_trap 2
	ds_read_b32 v0, v0
	v_mov_b32_e32 v40, v31
	v_and_b32_e32 v41, 0x3ff, v40
	s_mov_b32 s79, s12
	s_mov_b64 s[80:81], s[8:9]
	s_waitcnt lgkmcnt(0)
	v_cmp_lt_i32_e32 vcc, v41, v0
	s_and_saveexec_b64 s[0:1], vcc
	s_cbranch_execz .LBB5_5
; %bb.1:
	s_load_dword s2, s[80:81], 0x0
	v_mov_b32_e32 v1, 0
	s_mov_b32 s6, 0
	v_mov_b32_e32 v4, v41
                                        ; implicit-def: $vgpr2
	s_waitcnt lgkmcnt(0)
	s_cmp_lt_u32 s79, s2
	s_cselect_b32 s2, 12, 18
	s_add_u32 s2, s80, s2
	s_addc_u32 s3, s81, 0
	global_load_ushort v1, v1, s[2:3]
	s_trap 2
	ds_read_b32 v3, v0
	s_mov_b64 s[2:3], 0
	s_waitcnt vmcnt(0) lgkmcnt(0)
	v_mul_lo_u32 v3, v3, v1
	s_branch .LBB5_3
.LBB5_2:                                ;   in Loop: Header=BB5_3 Depth=1
	s_or_b64 exec, exec, s[4:5]
	v_add_u32_e32 v4, v4, v1
	v_cmp_ge_i32_e32 vcc, v4, v0
	s_or_b64 s[2:3], vcc, s[2:3]
	v_add_u32_e32 v2, v2, v3
	s_andn2_b64 exec, exec, s[2:3]
	s_cbranch_execz .LBB5_5
.LBB5_3:                                ; =>This Inner Loop Header: Depth=1
	ds_read_b32 v5, v2
	s_waitcnt lgkmcnt(0)
	v_and_b32_e32 v5, 0x1000000, v5
	v_cmp_ne_u32_e32 vcc, 0, v5
	s_and_saveexec_b64 s[4:5], vcc
	s_cbranch_execz .LBB5_2
; %bb.4:                                ;   in Loop: Header=BB5_3 Depth=1
	ds_read_b64 v[6:7], v2 offset:104
	s_waitcnt lgkmcnt(0)
	flat_load_ubyte v5, v[6:7]
	v_mov_b32_e32 v7, s6
	s_waitcnt vmcnt(0) lgkmcnt(0)
	v_and_b32_e32 v6, 0xffff, v5
	ds_write_b64 v2, v[6:7] offset:104
	s_branch .LBB5_2
.LBB5_5:
	s_or_b64 exec, exec, s[0:1]
	s_waitcnt lgkmcnt(0)
	s_barrier
	s_trap 2
	ds_read_b32 v0, v0
	s_waitcnt lgkmcnt(0)
	v_cmp_gt_i32_e32 vcc, 1, v0
	s_cbranch_vccnz .LBB5_13
; %bb.6:
	s_mov_b32 s86, 0
	s_mov_b64 s[82:83], src_shared_base
	v_mov_b32_e32 v42, 6
	s_branch .LBB5_8
.LBB5_7:                                ;   in Loop: Header=BB5_8 Depth=1
	s_or_b64 exec, exec, s[84:85]
	s_trap 2
	ds_read_b32 v0, v0
	s_add_i32 s86, s86, 1
	s_waitcnt lgkmcnt(0)
	v_cmp_lt_i32_e32 vcc, s86, v0
	s_cbranch_vccz .LBB5_13
.LBB5_8:                                ; =>This Inner Loop Header: Depth=1
	s_trap 2
	ds_read_b32 v0, v0
	s_cmp_eq_u32 s86, 0
	s_cbranch_scc1 .LBB5_11
; %bb.9:                                ;   in Loop: Header=BB5_8 Depth=1
	s_trap 2
	s_waitcnt lgkmcnt(0)
	ds_read_b32 v1, v0
	s_waitcnt lgkmcnt(0)
	v_xor_b32_e32 v1, v1, v0
	v_and_b32_e32 v1, 0xff0000, v1
	v_cmp_eq_u32_e32 vcc, 0, v1
	s_cbranch_vccnz .LBB5_11
; %bb.10:                               ;   in Loop: Header=BB5_8 Depth=1
	s_barrier
	ds_read_b32 v0, v0
.LBB5_11:                               ;   in Loop: Header=BB5_8 Depth=1
	s_waitcnt lgkmcnt(0)
	v_lshlrev_b32_sdwa v1, v42, v0 dst_sel:DWORD dst_unused:UNUSED_PAD src0_sel:DWORD src1_sel:BYTE_2
	v_cmp_lt_u32_e32 vcc, v41, v1
	s_and_saveexec_b64 s[84:85], vcc
	s_cbranch_execz .LBB5_7
; %bb.12:                               ;   in Loop: Header=BB5_8 Depth=1
	s_mov_b64 s[8:9], s[80:81]
	s_mov_b32 s12, s79
	v_mov_b32_e32 v31, v40
	v_mov_b32_e32 v0, v41
	;; [unrolled: 1-line block ×3, first 2 shown]
	s_getpc_b64 s[0:1]
	s_add_u32 s0, s0, _ZN12_GLOBAL__N_17runRingI19__hip_fp8_e5m2_fnuz13FuncPreMulSumIS1_E11ProtoSimpleILi1ELi1ELi0ELi2ELi0ELi0EELi0ELi2ELi0EEEviiP15ncclDevWorkColl@rel32@lo+4
	s_addc_u32 s1, s1, _ZN12_GLOBAL__N_17runRingI19__hip_fp8_e5m2_fnuz13FuncPreMulSumIS1_E11ProtoSimpleILi1ELi1ELi0ELi2ELi0ELi0EELi0ELi2ELi0EEEviiP15ncclDevWorkColl@rel32@hi+12
	s_swappc_b64 s[30:31], s[0:1]
	s_branch .LBB5_7
.LBB5_13:
	scratch_load_dword v63, off, s33        ; 4-byte Folded Reload
	scratch_load_dword v42, off, s33 offset:4 ; 4-byte Folded Reload
	scratch_load_dword v41, off, s33 offset:8 ; 4-byte Folded Reload
	;; [unrolled: 1-line block ×3, first 2 shown]
	v_readlane_b32 s30, v43, 53
	v_readlane_b32 s31, v43, 54
	;; [unrolled: 1-line block ×56, first 2 shown]
	s_or_saveexec_b64 s[2:3], -1
	scratch_load_dword v43, off, s33 offset:16 ; 4-byte Folded Reload
	s_mov_b64 exec, s[2:3]
	s_addk_i32 s32, 0xffe0
	s_mov_b32 s33, s0
	s_waitcnt vmcnt(0)
	s_setpc_b64 s[30:31]
.Lfunc_end5:
	.size	_Z53ncclDevFunc_Reduce_RING_SIMPLE_PreMulSum_f8e5m2_0_0_2v, .Lfunc_end5-_Z53ncclDevFunc_Reduce_RING_SIMPLE_PreMulSum_f8e5m2_0_0_2v
                                        ; -- End function
	.section	.AMDGPU.csdata,"",@progbits
; Function info:
; codeLenInByte = 1492
; NumSgprs: 93
; NumVgprs: 64
; NumAgprs: 61
; TotalNumVgprs: 125
; ScratchSize: 288
; MemoryBound: 0
	.text
	.p2align	2                               ; -- Begin function _ZN12_GLOBAL__N_17runRingI19__hip_fp8_e5m2_fnuz13FuncPreMulSumIS1_E11ProtoSimpleILi1ELi1ELi0ELi4ELi0ELi0EELi0ELi4ELi0EEEviiP15ncclDevWorkColl
	.type	_ZN12_GLOBAL__N_17runRingI19__hip_fp8_e5m2_fnuz13FuncPreMulSumIS1_E11ProtoSimpleILi1ELi1ELi0ELi4ELi0ELi0EELi0ELi4ELi0EEEviiP15ncclDevWorkColl,@function
_ZN12_GLOBAL__N_17runRingI19__hip_fp8_e5m2_fnuz13FuncPreMulSumIS1_E11ProtoSimpleILi1ELi1ELi0ELi4ELi0ELi0EELi0ELi4ELi0EEEviiP15ncclDevWorkColl: ; @_ZN12_GLOBAL__N_17runRingI19__hip_fp8_e5m2_fnuz13FuncPreMulSumIS1_E11ProtoSimpleILi1ELi1ELi0ELi4ELi0ELi0EELi0ELi4ELi0EEEviiP15ncclDevWorkColl
; %bb.0:
	s_waitcnt vmcnt(0) expcnt(0) lgkmcnt(0)
	s_mov_b32 s0, s33
	s_mov_b32 s33, s32
	s_or_saveexec_b64 s[2:3], -1
	scratch_store_dword off, v63, s33 offset:220 ; 4-byte Folded Spill
	s_mov_b64 exec, s[2:3]
	v_writelane_b32 v63, s0, 63
	s_addk_i32 s32, 0xf0
	scratch_store_dword off, v40, s33 offset:184 ; 4-byte Folded Spill
	scratch_store_dword off, v41, s33 offset:180 ; 4-byte Folded Spill
	scratch_store_dword off, v42, s33 offset:176 ; 4-byte Folded Spill
	scratch_store_dword off, v43, s33 offset:172 ; 4-byte Folded Spill
	scratch_store_dword off, v44, s33 offset:168 ; 4-byte Folded Spill
	scratch_store_dword off, v45, s33 offset:164 ; 4-byte Folded Spill
	scratch_store_dword off, v46, s33 offset:160 ; 4-byte Folded Spill
	scratch_store_dword off, v47, s33 offset:156 ; 4-byte Folded Spill
	scratch_store_dword off, v56, s33 offset:152 ; 4-byte Folded Spill
	scratch_store_dword off, v57, s33 offset:148 ; 4-byte Folded Spill
	scratch_store_dword off, v58, s33 offset:144 ; 4-byte Folded Spill
	scratch_store_dword off, v59, s33 offset:140 ; 4-byte Folded Spill
	scratch_store_dword off, v60, s33 offset:136 ; 4-byte Folded Spill
	scratch_store_dword off, v61, s33 offset:132 ; 4-byte Folded Spill
	scratch_store_dword off, v62, s33 offset:128 ; 4-byte Folded Spill
	scratch_store_dword off, a32, s33 offset:124 ; 4-byte Folded Spill
	scratch_store_dword off, a33, s33 offset:120 ; 4-byte Folded Spill
	scratch_store_dword off, a34, s33 offset:116 ; 4-byte Folded Spill
	scratch_store_dword off, a35, s33 offset:112 ; 4-byte Folded Spill
	scratch_store_dword off, a36, s33 offset:108 ; 4-byte Folded Spill
	scratch_store_dword off, a37, s33 offset:104 ; 4-byte Folded Spill
	scratch_store_dword off, a38, s33 offset:100 ; 4-byte Folded Spill
	scratch_store_dword off, a39, s33 offset:96 ; 4-byte Folded Spill
	scratch_store_dword off, a40, s33 offset:92 ; 4-byte Folded Spill
	scratch_store_dword off, a41, s33 offset:88 ; 4-byte Folded Spill
	scratch_store_dword off, a42, s33 offset:84 ; 4-byte Folded Spill
	scratch_store_dword off, a43, s33 offset:80 ; 4-byte Folded Spill
	scratch_store_dword off, a44, s33 offset:76 ; 4-byte Folded Spill
	scratch_store_dword off, a45, s33 offset:72 ; 4-byte Folded Spill
	scratch_store_dword off, a46, s33 offset:68 ; 4-byte Folded Spill
	scratch_store_dword off, a47, s33 offset:64 ; 4-byte Folded Spill
	scratch_store_dword off, a48, s33 offset:60 ; 4-byte Folded Spill
	scratch_store_dword off, a49, s33 offset:56 ; 4-byte Folded Spill
	scratch_store_dword off, a50, s33 offset:52 ; 4-byte Folded Spill
	scratch_store_dword off, a51, s33 offset:48 ; 4-byte Folded Spill
	scratch_store_dword off, a52, s33 offset:44 ; 4-byte Folded Spill
	scratch_store_dword off, a53, s33 offset:40 ; 4-byte Folded Spill
	scratch_store_dword off, a54, s33 offset:36 ; 4-byte Folded Spill
	scratch_store_dword off, a55, s33 offset:32 ; 4-byte Folded Spill
	scratch_store_dword off, a56, s33 offset:28 ; 4-byte Folded Spill
	scratch_store_dword off, a57, s33 offset:24 ; 4-byte Folded Spill
	scratch_store_dword off, a58, s33 offset:20 ; 4-byte Folded Spill
	scratch_store_dword off, a59, s33 offset:16 ; 4-byte Folded Spill
	scratch_store_dword off, a60, s33 offset:12 ; 4-byte Folded Spill
	scratch_store_dword off, a61, s33 offset:8 ; 4-byte Folded Spill
	scratch_store_dword off, a62, s33 offset:4 ; 4-byte Folded Spill
	scratch_store_dword off, a63, s33       ; 4-byte Folded Spill
	v_writelane_b32 v63, s34, 0
	v_writelane_b32 v63, s35, 1
	;; [unrolled: 1-line block ×62, first 2 shown]
	s_nop 1
	v_writelane_b32 v63, s31, 62
	v_mov_b32_e32 v57, v1
	v_mov_b32_e32 v61, v0
	s_trap 2
	ds_read_b64 v[0:1], v0
	v_accvgpr_write_b32 a1, v31
                                        ; implicit-def: $vgpr16_vgpr17
                                        ; implicit-def: $vgpr20_vgpr21
                                        ; implicit-def: $vgpr24_vgpr25
	s_waitcnt lgkmcnt(0)
	v_ashrrev_i32_e32 v7, 31, v1
	v_mov_b32_e32 v6, v1
	v_lshlrev_b64 v[6:7], 2, v[6:7]
	v_lshl_add_u64 v[6:7], v[0:1], 0, v[6:7]
	v_add_co_u32_e32 v6, vcc, -4, v6
	ds_read_b32 v5, v0
	flat_load_ushort v15, v[2:3] offset:8
	flat_load_dwordx2 v[8:9], v[2:3]
	v_addc_co_u32_e32 v7, vcc, -1, v7, vcc
	flat_load_dword v4, v[6:7]
	s_waitcnt vmcnt(0) lgkmcnt(0)
	v_mov_b32_e32 v14, v9
	v_cmp_ne_u32_sdwa s[0:1], v8, v5 src0_sel:BYTE_0 src1_sel:DWORD
	s_and_saveexec_b64 s[2:3], s[0:1]
	s_xor_b64 s[0:1], exec, s[2:3]
	s_cbranch_execz .LBB6_6
; %bb.1:
	v_not_b32_sdwa v1, v8 dst_sel:DWORD dst_unused:UNUSED_PAD src0_sel:BYTE_0
	v_cmp_ne_u32_sdwa s[2:3], v8, v5 src0_sel:BYTE_1 src1_sel:DWORD
                                        ; implicit-def: $vgpr16_vgpr17
                                        ; implicit-def: $vgpr20_vgpr21
                                        ; implicit-def: $vgpr24_vgpr25
	s_and_saveexec_b64 s[4:5], s[2:3]
	s_xor_b64 s[2:3], exec, s[4:5]
	s_cbranch_execz .LBB6_3
; %bb.2:
	flat_load_dwordx4 v[6:9], v[2:3] offset:72
	flat_load_dwordx2 v[10:11], v[2:3] offset:96
	v_add_u32_e32 v1, v5, v1
	v_ashrrev_i32_e32 v5, 31, v1
	s_waitcnt vmcnt(0) lgkmcnt(0)
	v_mul_lo_u32 v5, v8, v5
	v_mad_u64_u32 v[24:25], s[4:5], v8, v1, v[6:7]
	v_mul_lo_u32 v1, v9, v1
	v_lshrrev_b64 v[16:17], 12, v[10:11]
	v_add3_u32 v25, v1, v25, v5
	v_mov_b64_e32 v[20:21], v[8:9]
                                        ; implicit-def: $vgpr8
                                        ; implicit-def: $vgpr1
.LBB6_3:
	s_andn2_saveexec_b64 s[2:3], s[2:3]
	s_cbranch_execz .LBB6_5
; %bb.4:
	flat_load_dwordx4 v[10:13], v[2:3] offset:72
	flat_load_dwordx4 v[20:23], v[2:3] offset:88
	v_add_u32_sdwa v1, v8, v1 dst_sel:DWORD dst_unused:UNUSED_PAD src0_sel:BYTE_1 src1_sel:DWORD
	v_ashrrev_i32_e32 v5, 31, v1
	s_waitcnt vmcnt(0) lgkmcnt(0)
	v_mul_lo_u32 v5, v12, v5
	v_mad_u64_u32 v[24:25], s[4:5], v12, v1, v[10:11]
	v_mul_lo_u32 v1, v13, v1
	v_add3_u32 v25, v1, v25, v5
	v_lshrrev_b32_e32 v16, 1, v23
.LBB6_5:
	s_or_b64 exec, exec, s[2:3]
.LBB6_6:
	s_andn2_saveexec_b64 s[0:1], s[0:1]
	s_cbranch_execz .LBB6_8
; %bb.7:
	flat_load_dwordx2 v[6:7], v[2:3] offset:96
	flat_load_dwordx2 v[20:21], v[2:3] offset:72
	v_mov_b64_e32 v[24:25], 0
	s_waitcnt vmcnt(0) lgkmcnt(0)
	v_lshlrev_b64 v[16:17], 9, v[6:7]
.LBB6_8:
	s_or_b64 exec, exec, s[0:1]
	s_trap 2
	ds_read_b64 v[6:7], v0
	s_waitcnt lgkmcnt(0)
	v_cmp_ne_u32_e32 vcc, -1, v6
	s_nop 1
	v_cndmask_b32_e64 v1, 0, 1, vcc
	v_cmp_ne_u32_e32 vcc, -1, v7
	s_nop 1
	v_addc_co_u32_e64 v5, s[0:1], 0, v1, vcc
	v_lshlrev_b32_e32 v6, 1, v5
	v_cmp_le_i32_e64 s[0:1], v6, v57
	s_and_saveexec_b64 s[2:3], s[0:1]
	s_xor_b64 s[44:45], exec, s[2:3]
	s_cbranch_execz .LBB6_600
; %bb.9:
	flat_load_dwordx4 v[10:13], v[2:3] offset:16
	flat_load_dwordx2 v[18:19], v[2:3] offset:104
	s_trap 2
	s_load_dword s0, s[8:9], 0x0
	v_mov_b32_e32 v2, 0
	v_mov_b32_e32 v56, 4
	s_waitcnt lgkmcnt(0)
	s_cmp_lt_u32 s12, s0
	s_cselect_b32 s0, 12, 18
	s_add_u32 s0, s8, s0
	s_addc_u32 s1, s9, 0
	global_load_ushort v2, v2, s[0:1]
	v_cmp_ge_i32_e64 s[0:1], v61, v1
	s_waitcnt vmcnt(0)
	scratch_store_dword off, v2, s33 offset:196 ; 4-byte Folded Spill
	ds_read_b32 v2, v0
	s_waitcnt lgkmcnt(0)
	v_readfirstlane_b32 s60, v2
	s_and_saveexec_b64 s[2:3], s[0:1]
	s_cbranch_execz .LBB6_19
; %bb.10:
	v_cmp_le_u32_e64 s[0:1], v5, v61
                                        ; implicit-def: $vgpr56
	s_and_saveexec_b64 s[4:5], s[0:1]
	s_xor_b64 s[0:1], exec, s[4:5]
	s_cbranch_execz .LBB6_16
; %bb.11:
	v_cndmask_b32_e64 v2, 0, 1, vcc
	v_sub_u32_e32 v2, v57, v2
	v_cmp_ge_u32_e32 vcc, v61, v2
                                        ; implicit-def: $sgpr6
	s_and_saveexec_b64 s[4:5], vcc
	s_xor_b64 s[4:5], exec, s[4:5]
; %bb.12:
	s_mov_b32 s6, 16
                                        ; implicit-def: $vgpr5
; %bb.13:
	s_or_saveexec_b64 s[4:5], s[4:5]
	v_mov_b32_e32 v56, s6
	s_xor_b64 exec, exec, s[4:5]
; %bb.14:
	v_sub_u32_e32 v2, v57, v5
	v_cmp_ge_i32_e32 vcc, v61, v2
	s_nop 1
	v_cndmask_b32_e64 v2, 0, 1, vcc
	v_lshlrev_b32_e32 v56, 5, v2
; %bb.15:
	s_or_b64 exec, exec, s[4:5]
.LBB6_16:
	s_andn2_saveexec_b64 s[0:1], s[0:1]
; %bb.17:
	v_mov_b32_e32 v56, 8
; %bb.18:
	s_or_b64 exec, exec, s[0:1]
.LBB6_19:
	s_or_b64 exec, exec, s[2:3]
	v_and_b32_e32 v2, 36, v56
	v_cmp_ne_u32_e32 vcc, 0, v2
	v_mov_b32_e32 v2, -1
	s_and_saveexec_b64 s[0:1], vcc
	s_cbranch_execz .LBB6_21
; %bb.20:
	s_trap 2
	ds_read_b32 v2, v0
.LBB6_21:
	s_or_b64 exec, exec, s[0:1]
	v_and_b32_e32 v3, 24, v56
	v_cmp_ne_u32_e64 s[0:1], 0, v3
	s_and_saveexec_b64 s[2:3], s[0:1]
	s_cbranch_execz .LBB6_23
; %bb.22:
	s_trap 2
	s_waitcnt lgkmcnt(0)
	ds_read_b32 v2, v0
.LBB6_23:
	s_or_b64 exec, exec, s[2:3]
	v_lshrrev_b64 v[6:7], 31, v[14:15]
	v_mov_b64_e32 v[22:23], 0
	v_and_b32_e32 v5, 3, v6
	s_waitcnt lgkmcnt(0)
	v_ashrrev_i32_e32 v3, 31, v2
	v_mov_b64_e32 v[26:27], v[22:23]
                                        ; implicit-def: $vgpr6_vgpr7
                                        ; kill: killed $vgpr6_vgpr7
                                        ; implicit-def: $vgpr34
                                        ; implicit-def: $vgpr38_vgpr39
                                        ; implicit-def: $vgpr36_vgpr37
                                        ; implicit-def: $vgpr30_vgpr31
	s_and_saveexec_b64 s[0:1], vcc
	s_cbranch_execz .LBB6_33
; %bb.24:
	s_trap 2
	ds_read_b64 v[6:7], v0
	v_and_b32_e32 v8, 0xffff, v5
	s_movk_i32 s2, 0xa8
	s_waitcnt lgkmcnt(0)
	v_lshl_add_u64 v[6:7], v[2:3], 3, v[6:7]
	flat_load_dwordx2 v[6:7], v[6:7]
	s_waitcnt vmcnt(0) lgkmcnt(0)
	v_mad_u64_u32 v[6:7], s[2:3], v8, s2, v[6:7]
	flat_load_dword v8, v[6:7] offset:640
	s_mov_b64 s[2:3], 0x1f8
	v_lshl_add_u64 v[22:23], v[6:7], 0, s[2:3]
                                        ; implicit-def: $vgpr6_vgpr7
                                        ; kill: killed $vgpr6_vgpr7
	s_waitcnt vmcnt(0) lgkmcnt(0)
	v_cmp_eq_u32_e32 vcc, 1, v8
	s_and_saveexec_b64 s[2:3], vcc
	s_cbranch_execz .LBB6_26
; %bb.25:
	flat_load_dwordx2 v[8:9], v[22:23] offset:144
	v_or_b32_e32 v56, 0x2000, v56
	s_waitcnt vmcnt(0) lgkmcnt(0)
	flat_load_dwordx2 v[6:7], v[8:9]
	s_trap 2
	scratch_store_dwordx2 off, v[8:9], s33 offset:204 ; 8-byte Folded Spill
	s_waitcnt vmcnt(0) lgkmcnt(0)
	ds_write_b64 v0, v[6:7]
	flat_load_dwordx2 v[6:7], v[8:9] offset:8
	s_waitcnt vmcnt(0) lgkmcnt(0)
	ds_write_b64 v0, v[6:7]
	flat_load_dwordx2 v[6:7], v[8:9] offset:16
	s_waitcnt vmcnt(0) lgkmcnt(0)
	ds_write_b64 v0, v[6:7]
.LBB6_26:
	s_or_b64 exec, exec, s[2:3]
	flat_load_dwordx2 v[28:29], v[22:23] offset:104
	v_and_b32_e32 v6, 32, v56
	v_cmp_ne_u32_e32 vcc, 0, v6
                                        ; implicit-def: $vgpr30_vgpr31
	s_and_saveexec_b64 s[2:3], vcc
	s_cbranch_execz .LBB6_28
; %bb.27:
	flat_load_dwordx2 v[30:31], v[22:23] offset:56
	s_waitcnt vmcnt(0) lgkmcnt(0)
	flat_store_dwordx2 v[30:31], v[28:29] sc0 sc1
.LBB6_28:
	s_or_b64 exec, exec, s[2:3]
	v_and_b32_e32 v6, 4, v56
	v_cmp_ne_u32_e32 vcc, 0, v6
	v_mov_b64_e32 v[26:27], 0
                                        ; implicit-def: $vgpr34
                                        ; implicit-def: $vgpr38_vgpr39
                                        ; implicit-def: $vgpr36_vgpr37
	s_and_saveexec_b64 s[2:3], vcc
	s_cbranch_execz .LBB6_32
; %bb.29:
	v_and_b32_e32 v6, 0x800, v56
	v_cmp_eq_u32_e32 vcc, 0, v6
	s_and_saveexec_b64 s[4:5], vcc
	s_cbranch_execz .LBB6_31
; %bb.30:
	s_trap 2
	ds_write_b64 v0, v[22:23]
.LBB6_31:
	s_or_b64 exec, exec, s[4:5]
	flat_load_dwordx2 v[30:31], v[22:23] offset:48
	v_or_b32_e32 v6, 0x100, v56
	s_waitcnt vmcnt(0) lgkmcnt(0)
	flat_load_dwordx2 v[38:39], v[30:31] sc0 sc1
	flat_load_dwordx2 v[26:27], v[22:23] offset:96
	flat_load_dword v34, v[22:23] offset:72
	flat_load_dwordx2 v[36:37], v[22:23] offset:16
	s_waitcnt vmcnt(0) lgkmcnt(0)
	v_cmp_eq_u64_e32 vcc, 0, v[26:27]
	s_nop 1
	v_cndmask_b32_e32 v56, v6, v56, vcc
.LBB6_32:
	s_or_b64 exec, exec, s[2:3]
.LBB6_33:
	s_or_b64 exec, exec, s[0:1]
	v_and_b32_e32 v6, 24, v56
	v_cmp_ne_u32_e32 vcc, 0, v6
                                        ; implicit-def: $vgpr48_vgpr49
	s_and_saveexec_b64 s[0:1], vcc
	s_cbranch_execz .LBB6_41
; %bb.34:
	s_trap 2
	ds_read_b64 v[6:7], v0
	v_and_b32_e32 v5, 0xffff, v5
	s_movk_i32 s2, 0xa8
                                        ; implicit-def: $vgpr48_vgpr49
	s_waitcnt lgkmcnt(0)
	v_lshl_add_u64 v[2:3], v[2:3], 3, v[6:7]
	flat_load_dwordx2 v[2:3], v[2:3]
	s_waitcnt vmcnt(0) lgkmcnt(0)
	v_mad_u64_u32 v[22:23], s[2:3], v5, s2, v[2:3]
	flat_load_dwordx4 v[26:29], v[22:23] offset:96
	v_or_b32_e32 v2, 0x100, v56
	s_waitcnt vmcnt(0) lgkmcnt(0)
	v_cmp_eq_u64_e32 vcc, 0, v[26:27]
	s_nop 1
	v_cndmask_b32_e32 v56, v2, v56, vcc
	v_and_b32_e32 v2, 16, v56
	v_cmp_ne_u32_e32 vcc, 0, v2
	s_and_saveexec_b64 s[2:3], vcc
	s_cbranch_execz .LBB6_36
; %bb.35:
	flat_load_dwordx2 v[48:49], v[22:23] offset:120
	flat_load_dwordx2 v[30:31], v[22:23] offset:48
	;; [unrolled: 1-line block ×3, first 2 shown]
.LBB6_36:
	s_or_b64 exec, exec, s[2:3]
	v_and_b32_e32 v2, 8, v56
	v_cmp_ne_u32_e32 vcc, 0, v2
	s_and_saveexec_b64 s[2:3], vcc
	s_cbranch_execz .LBB6_40
; %bb.37:
	v_and_b32_e32 v2, 0x800, v56
	v_cmp_eq_u32_e32 vcc, 0, v2
	s_and_saveexec_b64 s[4:5], vcc
	s_cbranch_execz .LBB6_39
; %bb.38:
	s_trap 2
	ds_write_b64 v0, v[22:23]
.LBB6_39:
	s_or_b64 exec, exec, s[4:5]
	s_waitcnt vmcnt(0) lgkmcnt(0)
	flat_load_dwordx2 v[30:31], v[22:23] offset:56
	s_waitcnt vmcnt(0) lgkmcnt(0)
	flat_load_dwordx2 v[38:39], v[30:31] sc0 sc1
	flat_load_dword v34, v[22:23] offset:72
	flat_load_dwordx2 v[36:37], v[22:23] offset:16
.LBB6_40:
	s_or_b64 exec, exec, s[2:3]
.LBB6_41:
	s_or_b64 exec, exec, s[0:1]
	v_cmp_eq_u32_e64 s[0:1], 0, v61
	s_and_saveexec_b64 s[2:3], s[0:1]
	s_cbranch_execz .LBB6_43
; %bb.42:
	v_mov_b32_e32 v2, v12
	v_mov_b32_e32 v3, v13
	;; [unrolled: 1-line block ×4, first 2 shown]
	ds_write2_b64 v0, v[2:3], v[6:7] offset1:1
	v_mov_b32_e32 v2, 0
	v_mov_b32_e32 v3, v2
	s_trap 2
	ds_write_b64 v0, v[2:3]
	ds_write_b64 v0, v[18:19]
.LBB6_43:
	s_or_b64 exec, exec, s[2:3]
	v_and_b32_e32 v16, 0x3ffffe00, v16
	v_mov_b32_e32 v17, 0
	v_bfe_u32 v2, v14, 1, 30
	v_cmp_ne_u32_e32 vcc, v4, v2
                                        ; implicit-def: $vgpr14_vgpr15
	s_mov_b64 s[2:3], exec
	s_and_b64 s[4:5], s[2:3], vcc
	v_accvgpr_write_b32 a12, v22
	s_xor_b64 s[20:21], s[4:5], s[2:3]
	v_accvgpr_write_b32 a13, v23
	s_mov_b64 exec, s[4:5]
	s_cbranch_execz .LBB6_391
; %bb.44:
	v_cmp_ne_u32_e32 vcc, v0, v2
	v_cmp_ne_u64_e64 s[2:3], 0, v[20:21]
                                        ; implicit-def: $vgpr14_vgpr15
	s_and_saveexec_b64 s[4:5], vcc
	s_xor_b64 s[22:23], exec, s[4:5]
	s_cbranch_execz .LBB6_221
; %bb.45:
	v_mov_b64_e32 v[14:15], 0
	s_and_saveexec_b64 s[24:25], s[2:3]
	s_cbranch_execz .LBB6_220
; %bb.46:
	s_trap 2
	scratch_load_dword v0, off, s33 offset:196 ; 4-byte Folded Reload
	v_lshrrev_b32_e32 v52, 6, v57
	s_mov_b64 s[16:17], 0x1000
	v_lshlrev_b32_e32 v35, 10, v52
	s_ashr_i32 s4, s60, 31
	s_lshr_b32 s4, s4, 24
	v_mov_b32_e32 v33, 0
	v_and_b32_e32 v50, 0xffffffc0, v57
	s_add_i32 s4, s60, s4
	s_waitcnt vmcnt(0) lgkmcnt(0)
	v_ashrrev_i32_e32 v19, 31, v34
	v_cmp_eq_u32_e32 vcc, 64, v57
	v_mov_b32_e32 v53, v33
	v_ashrrev_i32_e32 v51, 31, v50
	v_mov_b64_e32 v[54:55], 0
	v_accvgpr_write_b32 a6, v20
	v_accvgpr_write_b32 a8, v24
	;; [unrolled: 1-line block ×8, first 2 shown]
	s_ashr_i32 s61, s4, 8
	v_cmp_ge_i32_e64 s[4:5], v61, v57
	v_cmp_ne_u32_e64 s[6:7], 64, v57
	s_movk_i32 s62, 0xfc00
	s_mov_b64 s[28:29], 0
	s_movk_i32 s63, 0x270e
	s_movk_i32 s64, 0x108
	v_mov_b32_e32 v40, 1
	s_xor_b64 s[30:31], vcc, -1
	s_mov_b32 s65, 0x7f800000
	s_mov_b32 s66, 0x47600000
	;; [unrolled: 1-line block ×3, first 2 shown]
	s_mov_b64 s[34:35], 0x7c0
	s_movk_i32 s68, 0xf840
	s_movk_i32 s69, 0xf880
	;; [unrolled: 1-line block ×26, first 2 shown]
	v_mov_b32_e32 v47, 0xc7600000
	v_mov_b64_e32 v[14:15], v[54:55]
	v_accvgpr_write_b32 a7, v21
	v_accvgpr_write_b32 a9, v25
	;; [unrolled: 1-line block ×11, first 2 shown]
	v_cmp_ne_u32_sdwa s[26:27], v0, v57 src0_sel:WORD_0 src1_sel:DWORD
	v_accvgpr_read_b32 v0, a1
	v_and_b32_e32 v0, 63, v0
	v_cmp_eq_u32_e64 s[10:11], 0, v0
	v_ashrrev_i32_e32 v0, 31, v61
	v_lshrrev_b32_e32 v0, 26, v0
	v_add_u32_e32 v0, v61, v0
	v_and_b32_e32 v2, 0xffffffc0, v0
	v_ashrrev_i32_e32 v18, 6, v0
	v_sub_u32_e32 v2, v61, v2
	v_lshlrev_b32_e32 v0, 12, v18
	v_lshl_add_u32 v0, v2, 4, v0
	v_cmp_le_i32_e64 s[12:13], v2, v1
	v_cmp_lt_i32_e64 s[14:15], v2, v1
	v_ashrrev_i32_e32 v1, 31, v0
	scratch_store_dwordx2 off, v[0:1], s33 offset:212 ; 8-byte Folded Spill
	v_mov_b32_e32 v0, 0xfffff000
	v_lshl_add_u32 v0, v52, 12, v0
	v_ashrrev_i32_e32 v1, 31, v0
	scratch_store_dword off, v2, s33 offset:200 ; 4-byte Folded Spill
	v_lshl_add_u64 v[2:3], v[0:1], 0, s[16:17]
	v_add_u32_e32 v0, 0xfffffc00, v35
	v_ashrrev_i32_e32 v1, 31, v0
	s_mov_b64 s[16:17], 0x400
	v_lshl_add_u64 v[0:1], v[0:1], 0, s[16:17]
	scratch_store_dwordx2 off, v[0:1], s33 offset:188 ; 8-byte Folded Spill
	v_mov_b32_e32 v0, 0xfffff800
	v_lshl_add_u32 v0, v52, 11, v0
	v_ashrrev_i32_e32 v1, 31, v0
	s_mov_b64 s[16:17], 0x800
	v_lshl_add_u64 v[0:1], v[0:1], 0, s[16:17]
	v_accvgpr_write_b32 a39, v3
	v_accvgpr_write_b32 a43, v1
	v_cmp_eq_u64_e64 s[16:17], 0, v[48:49]
	v_accvgpr_write_b32 a35, v18
	v_accvgpr_write_b32 a38, v2
	;; [unrolled: 1-line block ×3, first 2 shown]
	s_branch .LBB6_49
.LBB6_47:                               ;   in Loop: Header=BB6_49 Depth=1
	s_or_b64 exec, exec, s[18:19]
.LBB6_48:                               ;   in Loop: Header=BB6_49 Depth=1
	s_or_b64 exec, exec, s[38:39]
	v_lshl_add_u64 v[54:55], v[54:55], 0, v[16:17]
	v_cmp_ge_u64_e32 vcc, v[54:55], v[20:21]
	s_or_b64 s[28:29], vcc, s[28:29]
	s_andn2_b64 exec, exec, s[28:29]
	s_cbranch_execz .LBB6_219
.LBB6_49:                               ; =>This Loop Header: Depth=1
                                        ;     Child Loop BB6_58 Depth 2
                                        ;     Child Loop BB6_84 Depth 2
                                        ;     Child Loop BB6_103 Depth 2
                                        ;     Child Loop BB6_123 Depth 2
                                        ;     Child Loop BB6_128 Depth 2
                                        ;     Child Loop BB6_136 Depth 2
                                        ;     Child Loop BB6_141 Depth 2
                                        ;     Child Loop BB6_151 Depth 2
                                        ;     Child Loop BB6_176 Depth 2
                                        ;     Child Loop BB6_202 Depth 2
	v_sub_co_u32_e32 v0, vcc, v20, v54
	v_mov_b32_e32 v2, 0
	s_nop 0
	v_subb_co_u32_e32 v1, vcc, v21, v55, vcc
	v_cmp_lt_u64_e32 vcc, v[16:17], v[0:1]
	s_nop 1
	v_cndmask_b32_e64 v43, v1, 0, vcc
	v_cndmask_b32_e32 v42, v0, v16, vcc
	v_add_u32_e32 v0, 15, v42
	v_cmp_eq_u64_e32 vcc, 0, v[42:43]
	v_and_b32_e32 v0, 0x7ffffff0, v0
	s_or_b64 s[36:37], s[4:5], vcc
	v_max_i32_e32 v44, s61, v0
	s_xor_b64 s[18:19], s[36:37], -1
	s_and_saveexec_b64 s[38:39], s[18:19]
	s_cbranch_execz .LBB6_169
; %bb.50:                               ;   in Loop: Header=BB6_49 Depth=1
	s_and_saveexec_b64 s[18:19], s[0:1]
	s_cbranch_execz .LBB6_52
; %bb.51:                               ;   in Loop: Header=BB6_49 Depth=1
	s_trap 2
	ds_read_b64 v[0:1], v0
	v_mov_b32_e32 v32, v33
	s_waitcnt lgkmcnt(0)
	v_lshl_add_u64 v[0:1], v[0:1], 0, v[24:25]
	v_lshl_add_u64 v[0:1], v[0:1], 0, v[54:55]
	ds_write_b64 v0, v[0:1]
	ds_write_b64 v0, v[32:33]
.LBB6_52:                               ;   in Loop: Header=BB6_49 Depth=1
	s_or_b64 exec, exec, s[18:19]
	v_and_b32_e32 v0, 12, v56
	v_cmp_ne_u32_e32 vcc, 0, v0
	s_mov_b64 s[40:41], -1
	v_lshl_add_u64 v[0:1], v[28:29], 0, 1
	s_and_saveexec_b64 s[18:19], vcc
	s_cbranch_execz .LBB6_64
; %bb.53:                               ;   in Loop: Header=BB6_49 Depth=1
	v_and_b32_e32 v32, 8, v56
	v_lshl_add_u64 v[2:3], v[38:39], 0, v[32:33]
	v_lshl_add_u64 v[10:11], v[28:29], 0, 1
	v_cmp_lt_u64_e32 vcc, v[2:3], v[10:11]
	v_mov_b32_e32 v2, 1
	s_and_saveexec_b64 s[40:41], vcc
	s_cbranch_execz .LBB6_63
; %bb.54:                               ;   in Loop: Header=BB6_49 Depth=1
	s_mov_b64 s[42:43], 0
	v_mov_b32_e32 v2, 0
                                        ; implicit-def: $sgpr46_sgpr47
	s_branch .LBB6_58
.LBB6_55:                               ;   in Loop: Header=BB6_58 Depth=2
	s_or_b64 exec, exec, s[54:55]
	v_mov_b32_e32 v3, 0
	s_orn2_b64 s[52:53], s[52:53], exec
.LBB6_56:                               ;   in Loop: Header=BB6_58 Depth=2
	s_or_b64 exec, exec, s[50:51]
	s_andn2_b64 vcc, s[46:47], exec
	s_and_b64 s[46:47], s[52:53], exec
	s_or_b64 s[46:47], vcc, s[46:47]
	v_mov_b32_e32 v2, v3
.LBB6_57:                               ;   in Loop: Header=BB6_58 Depth=2
	s_or_b64 exec, exec, s[48:49]
	s_waitcnt vmcnt(0) lgkmcnt(0)
	v_lshl_add_u64 v[4:5], v[38:39], 0, v[32:33]
	v_cmp_ge_u64_e32 vcc, v[4:5], v[10:11]
	s_xor_b64 s[48:49], s[46:47], -1
	s_or_b64 vcc, s[48:49], vcc
	s_and_b64 vcc, exec, vcc
	s_or_b64 s[42:43], vcc, s[42:43]
	s_andn2_b64 exec, exec, s[42:43]
	s_cbranch_execz .LBB6_62
.LBB6_58:                               ;   Parent Loop BB6_49 Depth=1
                                        ; =>  This Inner Loop Header: Depth=2
	s_sleep 1
	flat_load_dwordx2 v[38:39], v[30:31] sc0 sc1
	v_and_b32_e32 v3, 64, v56
	v_cmp_eq_u32_e32 vcc, 0, v3
	s_andn2_b64 s[46:47], s[46:47], exec
	s_and_saveexec_b64 s[48:49], vcc
	s_cbranch_execz .LBB6_57
; %bb.59:                               ;   in Loop: Header=BB6_58 Depth=2
	v_add_u32_e32 v3, 1, v2
	v_cmp_lt_i32_e32 vcc, s63, v2
	s_mov_b64 s[52:53], -1
	s_and_saveexec_b64 s[50:51], vcc
	s_cbranch_execz .LBB6_56
; %bb.60:                               ;   in Loop: Header=BB6_58 Depth=2
	s_trap 2
	ds_read_b64 v[2:3], v0
	s_waitcnt vmcnt(0) lgkmcnt(0)
	flat_load_dword v2, v[2:3] sc0 sc1
	s_waitcnt vmcnt(0) lgkmcnt(0)
	buffer_inv sc0 sc1
	v_cmp_ne_u32_e32 vcc, 0, v2
	s_and_saveexec_b64 s[54:55], vcc
	s_cbranch_execz .LBB6_55
; %bb.61:                               ;   in Loop: Header=BB6_58 Depth=2
	v_or_b32_e32 v56, 64, v56
	s_xor_b64 s[52:53], exec, -1
	ds_write_b32 v0, v2
	s_trap 2
	s_branch .LBB6_55
.LBB6_62:                               ;   in Loop: Header=BB6_49 Depth=1
	s_or_b64 exec, exec, s[42:43]
	v_and_b32_e32 v2, 12, v56
.LBB6_63:                               ;   in Loop: Header=BB6_49 Depth=1
	s_or_b64 exec, exec, s[40:41]
	v_cmp_eq_u32_e32 vcc, 0, v2
	s_orn2_b64 s[40:41], vcc, exec
	;;#ASMSTART
	s_wakeup
	;;#ASMEND
.LBB6_64:                               ;   in Loop: Header=BB6_49 Depth=1
	s_or_b64 exec, exec, s[18:19]
	s_xor_b64 s[18:19], s[40:41], -1
	v_min_u32_e32 v44, v44, v42
	s_and_saveexec_b64 s[40:41], s[18:19]
	s_cbranch_execz .LBB6_76
; %bb.65:                               ;   in Loop: Header=BB6_49 Depth=1
	v_and_b32_e32 v2, 0x108, v56
	v_cmp_ne_u32_e32 vcc, s64, v2
	v_and_b32_e32 v8, 7, v28
	s_and_saveexec_b64 s[18:19], vcc
	s_xor_b64 s[18:19], exec, s[18:19]
	s_andn2_saveexec_b64 s[18:19], s[18:19]
	s_cbranch_execz .LBB6_67
; %bb.66:                               ;   in Loop: Header=BB6_49 Depth=1
	v_mad_u64_u32 v[2:3], vcc, v8, 24, v[26:27]
	v_mov_b32_e32 v45, v33
	flat_store_dwordx2 v[2:3], v[44:45] offset:8
.LBB6_67:                               ;   in Loop: Header=BB6_49 Depth=1
	s_or_b64 exec, exec, s[18:19]
	v_and_b32_e32 v2, 0x100, v56
	v_cmp_ne_u32_e32 vcc, 0, v2
	s_mov_b64 s[18:19], -1
                                        ; implicit-def: $vgpr10_vgpr11
	s_and_saveexec_b64 s[42:43], vcc
	s_cbranch_execz .LBB6_71
; %bb.68:                               ;   in Loop: Header=BB6_49 Depth=1
	v_mad_u64_u32 v[12:13], s[18:19], v8, 24, v[26:27]
	v_mov_b32_e32 v2, v13
	v_mad_u64_u32 v[2:3], s[18:19], v33, 24, v[2:3]
	v_mov_b32_e32 v13, v2
	flat_load_dword v2, v[12:13]
                                        ; implicit-def: $vgpr10_vgpr11
	s_waitcnt vmcnt(0) lgkmcnt(0)
	v_cmp_ne_u32_e32 vcc, 1, v2
	v_cmp_eq_u32_e64 s[18:19], 1, v2
	s_and_saveexec_b64 s[46:47], s[18:19]
	s_cbranch_execz .LBB6_70
; %bb.69:                               ;   in Loop: Header=BB6_49 Depth=1
	flat_load_dword v10, v[12:13] offset:4 sc0 sc1
	s_waitcnt vmcnt(0) lgkmcnt(0)
	v_ashrrev_i32_e32 v11, 31, v10
.LBB6_70:                               ;   in Loop: Header=BB6_49 Depth=1
	s_or_b64 exec, exec, s[46:47]
	s_orn2_b64 s[18:19], vcc, exec
.LBB6_71:                               ;   in Loop: Header=BB6_49 Depth=1
	s_or_b64 exec, exec, s[42:43]
	s_and_saveexec_b64 vcc, s[18:19]
; %bb.72:                               ;   in Loop: Header=BB6_49 Depth=1
	v_mul_lo_u32 v2, v33, v34
	v_mul_lo_u32 v3, v8, v19
	v_mad_u64_u32 v[10:11], s[18:19], v8, v34, 0
	v_add3_u32 v11, v11, v3, v2
; %bb.73:                               ;   in Loop: Header=BB6_49 Depth=1
	s_or_b64 exec, exec, vcc
	v_lshl_add_u64 v[2:3], v[36:37], 0, v[10:11]
	s_trap 2
	ds_write_b64 v0, v[2:3]
	v_and_b32_e32 v2, 0x2000, v56
	v_cmp_ne_u32_e32 vcc, 0, v2
	s_and_saveexec_b64 s[18:19], vcc
	s_cbranch_execz .LBB6_75
; %bb.74:                               ;   in Loop: Header=BB6_49 Depth=1
	ds_read_b64 v[2:3], v0 offset:584
	s_waitcnt lgkmcnt(0)
	v_lshl_add_u64 v[2:3], v[2:3], 0, 1
	ds_write_b64 v0, v[2:3] offset:584
.LBB6_75:                               ;   in Loop: Header=BB6_49 Depth=1
	s_or_b64 exec, exec, s[18:19]
	v_mov_b64_e32 v[28:29], v[0:1]
.LBB6_76:                               ;   in Loop: Header=BB6_49 Depth=1
	s_or_b64 exec, exec, s[40:41]
	s_and_saveexec_b64 s[18:19], s[6:7]
	s_cbranch_execz .LBB6_95
; %bb.77:                               ;   in Loop: Header=BB6_49 Depth=1
	s_and_saveexec_b64 vcc, s[26:27]
	s_xor_b64 s[40:41], exec, vcc
	s_cbranch_execz .LBB6_92
; %bb.78:                               ;   in Loop: Header=BB6_49 Depth=1
	s_and_saveexec_b64 s[42:43], s[10:11]
	s_cbranch_execz .LBB6_91
; %bb.79:                               ;   in Loop: Header=BB6_49 Depth=1
	s_mov_b64 s[48:49], exec
	v_mbcnt_lo_u32_b32 v0, s48, 0
	v_mbcnt_hi_u32_b32 v0, s49, v0
	v_cmp_eq_u32_e32 vcc, 0, v0
	s_waitcnt lgkmcnt(0)
	s_and_saveexec_b64 s[46:47], vcc
	s_cbranch_execz .LBB6_81
; %bb.80:                               ;   in Loop: Header=BB6_49 Depth=1
	s_bcnt1_i32_b64 vcc_lo, s[48:49]
	v_mov_b32_e32 v32, vcc_lo
	ds_add_u64 v0, v[32:33]
	s_trap 2
.LBB6_81:                               ;   in Loop: Header=BB6_49 Depth=1
	s_or_b64 exec, exec, s[46:47]
	s_trap 2
	ds_read_b64 v[0:1], v0
	v_lshl_add_u64 v[14:15], v[14:15], 0, v[52:53]
	s_waitcnt lgkmcnt(0)
	v_cmp_lt_u64_e32 vcc, v[0:1], v[14:15]
	s_and_saveexec_b64 s[46:47], vcc
	s_cbranch_execz .LBB6_90
; %bb.82:                               ;   in Loop: Header=BB6_49 Depth=1
	s_mov_b32 s58, 0
	s_mov_b64 s[48:49], 0
                                        ; implicit-def: $sgpr50_sgpr51
                                        ; implicit-def: $sgpr52_sgpr53
	s_branch .LBB6_84
.LBB6_83:                               ;   in Loop: Header=BB6_84 Depth=2
	s_or_b64 exec, exec, s[56:57]
	s_and_b64 vcc, exec, vcc
	s_or_b64 s[48:49], vcc, s[48:49]
	s_andn2_b64 vcc, s[50:51], exec
	s_and_b64 s[50:51], s[52:53], exec
	s_or_b64 s[50:51], vcc, s[50:51]
	s_andn2_b64 exec, exec, s[48:49]
	s_cbranch_execz .LBB6_88
.LBB6_84:                               ;   Parent Loop BB6_49 Depth=1
                                        ; =>  This Inner Loop Header: Depth=2
	s_add_i32 s58, s58, 1
	s_cmpk_lg_i32 s58, 0x2710
	s_cselect_b64 s[54:55], -1, 0
	s_and_b64 vcc, exec, s[54:55]
                                        ; implicit-def: $sgpr56_sgpr57
	s_cbranch_vccnz .LBB6_86
; %bb.85:                               ;   in Loop: Header=BB6_84 Depth=2
	s_trap 2
	ds_read_b64 v[0:1], v0
	s_andn2_b64 s[54:55], s[54:55], exec
	s_mov_b32 s58, 0
	s_mov_b64 s[56:57], -1
	s_waitcnt vmcnt(0) lgkmcnt(0)
	flat_load_dword v0, v[0:1] sc0 sc1
	s_waitcnt vmcnt(0) lgkmcnt(0)
	buffer_inv sc0 sc1
	v_cmp_eq_u32_e32 vcc, 0, v0
	s_and_b64 vcc, vcc, exec
	s_or_b64 s[54:55], s[54:55], vcc
.LBB6_86:                               ;   in Loop: Header=BB6_84 Depth=2
	s_andn2_b64 s[52:53], s[52:53], exec
	s_and_b64 s[56:57], s[56:57], exec
	s_mov_b64 vcc, -1
	s_or_b64 s[52:53], s[52:53], s[56:57]
	s_and_saveexec_b64 s[56:57], s[54:55]
	s_cbranch_execz .LBB6_83
; %bb.87:                               ;   in Loop: Header=BB6_84 Depth=2
	s_sleep 1
	s_trap 2
	ds_read_b64 v[0:1], v0
	s_andn2_b64 s[52:53], s[52:53], exec
	s_waitcnt lgkmcnt(0)
	v_cmp_ge_u64_e32 vcc, v[0:1], v[14:15]
	s_orn2_b64 vcc, vcc, exec
	s_branch .LBB6_83
.LBB6_88:                               ;   in Loop: Header=BB6_49 Depth=1
	s_or_b64 exec, exec, s[48:49]
	s_and_saveexec_b64 vcc, s[50:51]
	s_xor_b64 vcc, exec, vcc
	s_cbranch_execz .LBB6_90
; %bb.89:                               ;   in Loop: Header=BB6_49 Depth=1
	ds_write_b32 v0, v40
	s_trap 2
.LBB6_90:                               ;   in Loop: Header=BB6_49 Depth=1
	s_or_b64 exec, exec, s[46:47]
	;;#ASMSTART
	s_wakeup
	;;#ASMEND
.LBB6_91:                               ;   in Loop: Header=BB6_49 Depth=1
	s_or_b64 exec, exec, s[42:43]
.LBB6_92:                               ;   in Loop: Header=BB6_49 Depth=1
	s_andn2_saveexec_b64 vcc, s[40:41]
	s_cbranch_execz .LBB6_94
; %bb.93:                               ;   in Loop: Header=BB6_49 Depth=1
	s_waitcnt lgkmcnt(0)
	s_barrier
.LBB6_94:                               ;   in Loop: Header=BB6_49 Depth=1
	s_or_b64 exec, exec, vcc
.LBB6_95:                               ;   in Loop: Header=BB6_49 Depth=1
	s_or_b64 exec, exec, s[18:19]
	s_trap 2
	ds_read_b32 v0, v0
	v_and_b32_e32 v1, 0x4000, v56
	v_cmp_ne_u32_e32 vcc, 0, v1
	s_and_b64 vcc, s[30:31], vcc
	s_and_saveexec_b64 s[18:19], vcc
	s_cbranch_execz .LBB6_114
; %bb.96:                               ;   in Loop: Header=BB6_49 Depth=1
	s_and_saveexec_b64 vcc, s[26:27]
	s_xor_b64 s[40:41], exec, vcc
	s_cbranch_execz .LBB6_111
; %bb.97:                               ;   in Loop: Header=BB6_49 Depth=1
	s_and_saveexec_b64 s[42:43], s[10:11]
	s_cbranch_execz .LBB6_110
; %bb.98:                               ;   in Loop: Header=BB6_49 Depth=1
	s_mov_b64 s[48:49], exec
	v_mbcnt_lo_u32_b32 v1, s48, 0
	v_mbcnt_hi_u32_b32 v1, s49, v1
	v_cmp_eq_u32_e32 vcc, 0, v1
	s_waitcnt lgkmcnt(0)
	s_and_saveexec_b64 s[46:47], vcc
	s_cbranch_execz .LBB6_100
; %bb.99:                               ;   in Loop: Header=BB6_49 Depth=1
	s_bcnt1_i32_b64 vcc_lo, s[48:49]
	v_mov_b32_e32 v32, vcc_lo
	ds_add_u64 v0, v[32:33]
	s_trap 2
.LBB6_100:                              ;   in Loop: Header=BB6_49 Depth=1
	s_or_b64 exec, exec, s[46:47]
	s_trap 2
	ds_read_b64 v[2:3], v0
	v_lshl_add_u64 v[14:15], v[14:15], 0, v[52:53]
	s_waitcnt lgkmcnt(0)
	v_cmp_lt_u64_e32 vcc, v[2:3], v[14:15]
	s_and_saveexec_b64 s[46:47], vcc
	s_cbranch_execz .LBB6_109
; %bb.101:                              ;   in Loop: Header=BB6_49 Depth=1
	s_mov_b32 s58, 0
	s_mov_b64 s[48:49], 0
                                        ; implicit-def: $sgpr50_sgpr51
                                        ; implicit-def: $sgpr52_sgpr53
	s_branch .LBB6_103
.LBB6_102:                              ;   in Loop: Header=BB6_103 Depth=2
	s_or_b64 exec, exec, s[56:57]
	s_and_b64 vcc, exec, vcc
	s_or_b64 s[48:49], vcc, s[48:49]
	s_andn2_b64 vcc, s[50:51], exec
	s_and_b64 s[50:51], s[52:53], exec
	s_or_b64 s[50:51], vcc, s[50:51]
	s_andn2_b64 exec, exec, s[48:49]
	s_cbranch_execz .LBB6_107
.LBB6_103:                              ;   Parent Loop BB6_49 Depth=1
                                        ; =>  This Inner Loop Header: Depth=2
	s_add_i32 s58, s58, 1
	s_cmpk_lg_i32 s58, 0x2710
	s_cselect_b64 s[54:55], -1, 0
	s_and_b64 vcc, exec, s[54:55]
                                        ; implicit-def: $sgpr56_sgpr57
	s_cbranch_vccnz .LBB6_105
; %bb.104:                              ;   in Loop: Header=BB6_103 Depth=2
	s_trap 2
	ds_read_b64 v[2:3], v0
	s_andn2_b64 s[54:55], s[54:55], exec
	s_mov_b32 s58, 0
	s_mov_b64 s[56:57], -1
	s_waitcnt vmcnt(0) lgkmcnt(0)
	flat_load_dword v1, v[2:3] sc0 sc1
	s_waitcnt vmcnt(0) lgkmcnt(0)
	buffer_inv sc0 sc1
	v_cmp_eq_u32_e32 vcc, 0, v1
	s_and_b64 vcc, vcc, exec
	s_or_b64 s[54:55], s[54:55], vcc
.LBB6_105:                              ;   in Loop: Header=BB6_103 Depth=2
	s_andn2_b64 s[52:53], s[52:53], exec
	s_and_b64 s[56:57], s[56:57], exec
	s_mov_b64 vcc, -1
	s_or_b64 s[52:53], s[52:53], s[56:57]
	s_and_saveexec_b64 s[56:57], s[54:55]
	s_cbranch_execz .LBB6_102
; %bb.106:                              ;   in Loop: Header=BB6_103 Depth=2
	s_sleep 1
	s_trap 2
	ds_read_b64 v[2:3], v0
	s_andn2_b64 s[52:53], s[52:53], exec
	s_waitcnt lgkmcnt(0)
	v_cmp_ge_u64_e32 vcc, v[2:3], v[14:15]
	s_orn2_b64 vcc, vcc, exec
	s_branch .LBB6_102
.LBB6_107:                              ;   in Loop: Header=BB6_49 Depth=1
	s_or_b64 exec, exec, s[48:49]
	s_and_saveexec_b64 vcc, s[50:51]
	s_xor_b64 vcc, exec, vcc
	s_cbranch_execz .LBB6_109
; %bb.108:                              ;   in Loop: Header=BB6_49 Depth=1
	ds_write_b32 v0, v40
	s_trap 2
.LBB6_109:                              ;   in Loop: Header=BB6_49 Depth=1
	s_or_b64 exec, exec, s[46:47]
	;;#ASMSTART
	s_wakeup
	;;#ASMEND
.LBB6_110:                              ;   in Loop: Header=BB6_49 Depth=1
	s_or_b64 exec, exec, s[42:43]
.LBB6_111:                              ;   in Loop: Header=BB6_49 Depth=1
	s_andn2_saveexec_b64 vcc, s[40:41]
	s_cbranch_execz .LBB6_113
; %bb.112:                              ;   in Loop: Header=BB6_49 Depth=1
	s_waitcnt lgkmcnt(0)
	s_barrier
.LBB6_113:                              ;   in Loop: Header=BB6_49 Depth=1
	s_or_b64 exec, exec, vcc
.LBB6_114:                              ;   in Loop: Header=BB6_49 Depth=1
	s_or_b64 exec, exec, s[18:19]
	s_trap 2
	s_waitcnt lgkmcnt(0)
	ds_read_b64 v[2:3], v0
	s_waitcnt lgkmcnt(0)
	v_readfirstlane_b32 s18, v2
	v_readfirstlane_b32 s19, v3
	s_cmp_eq_u64 s[18:19], 0
	s_cselect_b64 s[18:19], -1, 0
	s_or_b64 vcc, s[18:19], s[18:19]
	s_mov_b64 s[18:19], 0
	s_and_b64 vcc, exec, vcc
	s_cbranch_vccnz .LBB6_143
; %bb.115:                              ;   in Loop: Header=BB6_49 Depth=1
	s_mov_b64 s[18:19], -1
	s_and_saveexec_b64 s[40:41], s[12:13]
	s_cbranch_execz .LBB6_117
; %bb.116:                              ;   in Loop: Header=BB6_49 Depth=1
	ds_read_b32 v1, v0 offset:720
	s_waitcnt lgkmcnt(0)
	v_and_b32_e32 v1, 15, v1
	v_cmp_eq_u32_e32 vcc, 0, v1
	s_orn2_b64 s[18:19], vcc, exec
.LBB6_117:                              ;   in Loop: Header=BB6_49 Depth=1
	s_or_b64 exec, exec, s[40:41]
	s_and_saveexec_b64 s[40:41], s[14:15]
	s_cbranch_execz .LBB6_119
; %bb.118:                              ;   in Loop: Header=BB6_49 Depth=1
	ds_read_b32 v1, v0 offset:784
	s_waitcnt lgkmcnt(0)
	v_and_b32_e32 v1, 15, v1
	v_cmp_eq_u32_e32 vcc, 0, v1
	s_and_b64 vcc, s[18:19], vcc
	s_andn2_b64 s[18:19], s[18:19], exec
	s_and_b64 vcc, vcc, exec
	s_or_b64 s[18:19], s[18:19], vcc
.LBB6_119:                              ;   in Loop: Header=BB6_49 Depth=1
	s_or_b64 exec, exec, s[40:41]
	s_xor_b64 s[18:19], s[18:19], -1
	v_cmp_eq_u32_e32 vcc, 0, v0
	v_cndmask_b32_e64 v0, 0, 1, s[18:19]
	;;#ASMSTART
	;;#ASMEND
	v_mov_b32_e32 v10, 0
	v_cndmask_b32_e32 v41, 0, v44, vcc
	s_mov_b64 s[42:43], -1
	v_cmp_ne_u32_e32 vcc, 0, v0
	v_mov_b32_e32 v5, v41
	v_mov_b32_e32 v2, v61
	;; [unrolled: 1-line block ×3, first 2 shown]
	s_cbranch_vccz .LBB6_121
; %bb.120:                              ;   in Loop: Header=BB6_49 Depth=1
	s_and_saveexec_b64 s[18:19], s[42:43]
	s_cbranch_execnz .LBB6_134
	s_branch .LBB6_142
.LBB6_121:                              ;   in Loop: Header=BB6_49 Depth=1
	v_lshrrev_b32_e32 v0, 12, v41
	v_sub_u32_e32 v32, v0, v18
	v_cmp_lt_i32_e32 vcc, 0, v32
	s_and_saveexec_b64 s[18:19], vcc
	s_cbranch_execz .LBB6_125
; %bb.122:                              ;   in Loop: Header=BB6_49 Depth=1
	s_trap 2
	scratch_load_dwordx2 v[6:7], off, s33 offset:212 ; 8-byte Folded Reload
	ds_read_b128 v[0:3], v0
	v_accvgpr_write_b32 a26, v54
	v_accvgpr_write_b32 a25, v15
	;; [unrolled: 1-line block ×4, first 2 shown]
	s_waitcnt lgkmcnt(0)
	ds_read_b64 v[4:5], v0
	v_mov_b32_e32 v62, v57
	v_accvgpr_write_b32 a41, v41
	v_accvgpr_write_b32 a48, v44
	;; [unrolled: 1-line block ×11, first 2 shown]
	s_mov_b64 s[40:41], 0
	s_waitcnt vmcnt(0)
	v_lshl_add_u64 v[0:1], v[0:1], 0, v[6:7]
	v_lshl_add_u64 v[30:31], v[2:3], 0, v[6:7]
	s_waitcnt lgkmcnt(0)
	v_lshl_add_u64 v[50:51], v[4:5], 0, v[6:7]
.LBB6_123:                              ;   Parent Loop BB6_49 Depth=1
                                        ; =>  This Inner Loop Header: Depth=2
	s_trap 2
	global_load_dwordx4 v[10:13], v[0:1], off nt
	ds_read_b32 v2, v0
	s_waitcnt lgkmcnt(0)
	v_and_b32_e32 v2, 0xff, v2
	v_cvt_f32_bf8_sdwa v14, v2 src0_sel:BYTE_0
	s_waitcnt vmcnt(0)
	v_and_b32_e32 v2, 0xff, v10
	v_cvt_f32_bf8_sdwa v2, v2 src0_sel:BYTE_0
	v_bfe_u32 v5, v10, 16, 8
	v_cvt_f32_bf8_sdwa v5, v5 src0_sel:BYTE_0
	v_mul_f32_e32 v2, v14, v2
	v_cmp_nlg_f32_e64 vcc, |v2|, s65
	v_med3_f32 v3, v2, s66, v47
	v_mul_f32_e32 v5, v14, v5
	v_cndmask_b32_e32 v2, v3, v2, vcc
	v_mov_b32_e32 v3, 0
	v_cvt_pk_bf8_f32 v3, v2, v2
	v_bfe_u32 v2, v10, 8, 8
	v_cvt_f32_bf8_sdwa v2, v2 src0_sel:BYTE_0
	v_med3_f32 v6, v5, s66, v47
	v_mul_f32_e32 v2, v14, v2
	v_cmp_nlg_f32_e64 vcc, |v2|, s65
	v_med3_f32 v4, v2, s66, v47
	s_nop 0
	v_cndmask_b32_e32 v2, v4, v2, vcc
	v_mov_b32_e32 v4, 0
	v_cvt_pk_bf8_f32 v4, v2, v2
	v_cmp_nlg_f32_e64 vcc, |v5|, s65
	v_lshlrev_b32_e32 v2, 8, v4
	v_lshrrev_b32_e32 v4, 24, v10
	v_cvt_f32_bf8_sdwa v4, v4 src0_sel:BYTE_0
	v_perm_b32 v46, v2, v3, s67
	v_and_b32_e32 v2, 0xff, v11
	v_cvt_f32_bf8_sdwa v2, v2 src0_sel:BYTE_0
	v_cndmask_b32_e32 v5, v6, v5, vcc
	v_mov_b32_e32 v6, 0
	v_mul_f32_e32 v4, v14, v4
	v_cvt_pk_bf8_f32 v6, v5, v5
	v_cmp_nlg_f32_e64 vcc, |v4|, s65
	v_med3_f32 v5, v4, s66, v47
	v_mul_f32_e32 v2, v14, v2
	v_cndmask_b32_e32 v4, v5, v4, vcc
	v_cmp_nlg_f32_e64 vcc, |v2|, s65
	v_med3_f32 v3, v2, s66, v47
	v_mov_b32_e32 v5, 0
	v_cndmask_b32_e32 v2, v3, v2, vcc
	v_mov_b32_e32 v3, 0
	v_cvt_pk_bf8_f32 v3, v2, v2
	v_bfe_u32 v2, v11, 8, 8
	v_cvt_pk_bf8_f32 v5, v4, v4
	v_cvt_f32_bf8_sdwa v2, v2 src0_sel:BYTE_0
	v_cvt_pk_f32_bf8_e32 v[40:41], v46
	v_lshlrev_b32_e32 v4, 8, v5
	v_mul_f32_e32 v2, v14, v2
	v_perm_b32 v42, v4, v6, s67
	v_cmp_nlg_f32_e64 vcc, |v2|, s65
	v_med3_f32 v4, v2, s66, v47
	v_bfe_u32 v5, v11, 16, 8
	v_cndmask_b32_e32 v2, v4, v2, vcc
	v_mov_b32_e32 v4, 0
	v_cvt_pk_bf8_f32 v4, v2, v2
	v_cvt_f32_bf8_sdwa v5, v5 src0_sel:BYTE_0
	v_lshlrev_b32_e32 v2, 8, v4
	v_lshrrev_b32_e32 v4, 24, v11
	v_cvt_f32_bf8_sdwa v4, v4 src0_sel:BYTE_0
	v_perm_b32 v27, v2, v3, s67
	v_and_b32_e32 v2, 0xff, v12
	v_cvt_f32_bf8_sdwa v2, v2 src0_sel:BYTE_0
	v_mul_f32_e32 v5, v14, v5
	v_cmp_nlg_f32_e64 vcc, |v5|, s65
	v_med3_f32 v6, v5, s66, v47
	v_mul_f32_e32 v4, v14, v4
	v_cndmask_b32_e32 v5, v6, v5, vcc
	v_mov_b32_e32 v6, 0
	v_cvt_pk_bf8_f32 v6, v5, v5
	v_cmp_nlg_f32_e64 vcc, |v4|, s65
	v_med3_f32 v5, v4, s66, v47
	v_mul_f32_e32 v2, v14, v2
	v_cndmask_b32_e32 v4, v5, v4, vcc
	v_cmp_nlg_f32_e64 vcc, |v2|, s65
	v_med3_f32 v3, v2, s66, v47
	v_mov_b32_e32 v5, 0
	v_cndmask_b32_e32 v2, v3, v2, vcc
	v_mov_b32_e32 v3, 0
	v_cvt_pk_bf8_f32 v3, v2, v2
	v_bfe_u32 v2, v12, 8, 8
	v_cvt_pk_bf8_f32 v5, v4, v4
	v_cvt_f32_bf8_sdwa v2, v2 src0_sel:BYTE_0
	v_lshlrev_b32_e32 v4, 8, v5
	v_mul_f32_e32 v2, v14, v2
	v_perm_b32 v26, v4, v6, s67
	v_cmp_nlg_f32_e64 vcc, |v2|, s65
	v_med3_f32 v4, v2, s66, v47
	v_bfe_u32 v5, v12, 16, 8
	v_cndmask_b32_e32 v2, v4, v2, vcc
	v_mov_b32_e32 v4, 0
	v_cvt_pk_bf8_f32 v4, v2, v2
	v_cvt_f32_bf8_sdwa v5, v5 src0_sel:BYTE_0
	v_lshlrev_b32_e32 v2, 8, v4
	v_lshrrev_b32_e32 v4, 24, v12
	v_cvt_f32_bf8_sdwa v4, v4 src0_sel:BYTE_0
	v_perm_b32 v55, v2, v3, s67
	v_and_b32_e32 v2, 0xff, v13
	v_cvt_f32_bf8_sdwa v2, v2 src0_sel:BYTE_0
	v_mul_f32_e32 v5, v14, v5
	v_cmp_nlg_f32_e64 vcc, |v5|, s65
	v_med3_f32 v6, v5, s66, v47
	v_mul_f32_e32 v4, v14, v4
	v_cndmask_b32_e32 v5, v6, v5, vcc
	v_mov_b32_e32 v6, 0
	v_cvt_pk_bf8_f32 v6, v5, v5
	v_cmp_nlg_f32_e64 vcc, |v4|, s65
	v_med3_f32 v5, v4, s66, v47
	v_mul_f32_e32 v2, v14, v2
	v_cndmask_b32_e32 v4, v5, v4, vcc
	v_cmp_nlg_f32_e64 vcc, |v2|, s65
	v_med3_f32 v3, v2, s66, v47
	v_mov_b32_e32 v5, 0
	v_cndmask_b32_e32 v2, v3, v2, vcc
	v_mov_b32_e32 v3, 0
	v_cvt_pk_bf8_f32 v3, v2, v2
	v_bfe_u32 v2, v13, 8, 8
	v_cvt_pk_bf8_f32 v5, v4, v4
	v_cvt_f32_bf8_sdwa v2, v2 src0_sel:BYTE_0
	v_lshlrev_b32_e32 v4, 8, v5
	v_mul_f32_e32 v2, v14, v2
	v_perm_b32 v54, v4, v6, s67
	v_cmp_nlg_f32_e64 vcc, |v2|, s65
	v_med3_f32 v4, v2, s66, v47
	v_bfe_u32 v5, v13, 16, 8
	v_cndmask_b32_e32 v2, v4, v2, vcc
	v_mov_b32_e32 v4, 0
	v_cvt_pk_bf8_f32 v4, v2, v2
	v_cvt_f32_bf8_sdwa v5, v5 src0_sel:BYTE_0
	v_lshlrev_b32_e32 v2, 8, v4
	v_lshrrev_b32_e32 v4, 24, v13
	global_load_dwordx4 v[10:13], v[0:1], off offset:1024 nt
	v_cvt_f32_bf8_sdwa v4, v4 src0_sel:BYTE_0
	v_perm_b32 v49, v2, v3, s67
	v_mul_f32_e32 v5, v14, v5
	v_cmp_nlg_f32_e64 vcc, |v5|, s65
	v_med3_f32 v6, v5, s66, v47
	v_mul_f32_e32 v4, v14, v4
	v_cndmask_b32_e32 v5, v6, v5, vcc
	v_mov_b32_e32 v6, 0
	v_cvt_pk_bf8_f32 v6, v5, v5
	v_cmp_nlg_f32_e64 vcc, |v4|, s65
	v_med3_f32 v5, v4, s66, v47
	s_waitcnt vmcnt(0)
	v_and_b32_e32 v2, 0xff, v10
	v_cvt_f32_bf8_sdwa v2, v2 src0_sel:BYTE_0
	v_cndmask_b32_e32 v4, v5, v4, vcc
	v_mov_b32_e32 v5, 0
	v_cvt_pk_bf8_f32 v5, v4, v4
	v_mul_f32_e32 v2, v14, v2
	v_cmp_nlg_f32_e64 vcc, |v2|, s65
	v_med3_f32 v3, v2, s66, v47
	v_lshlrev_b32_e32 v4, 8, v5
	v_cndmask_b32_e32 v2, v3, v2, vcc
	v_mov_b32_e32 v3, 0
	v_cvt_pk_bf8_f32 v3, v2, v2
	v_bfe_u32 v2, v10, 8, 8
	v_cvt_f32_bf8_sdwa v2, v2 src0_sel:BYTE_0
	v_perm_b32 v48, v4, v6, s67
	v_bfe_u32 v5, v10, 16, 8
	v_cvt_f32_bf8_sdwa v5, v5 src0_sel:BYTE_0
	v_mul_f32_e32 v2, v14, v2
	v_cmp_nlg_f32_e64 vcc, |v2|, s65
	v_med3_f32 v4, v2, s66, v47
	v_mul_f32_e32 v5, v14, v5
	v_cndmask_b32_e32 v2, v4, v2, vcc
	v_mov_b32_e32 v4, 0
	v_cvt_pk_bf8_f32 v4, v2, v2
	v_lshrrev_b32_e32 v2, 24, v10
	v_cvt_f32_bf8_sdwa v2, v2 src0_sel:BYTE_0
	v_cmp_nlg_f32_e64 vcc, |v5|, s65
	v_lshlrev_b32_e32 v4, 8, v4
	v_perm_b32 v34, v4, v3, s67
	v_and_b32_e32 v3, 0xff, v11
	v_cvt_f32_bf8_sdwa v3, v3 src0_sel:BYTE_0
	v_med3_f32 v6, v5, s66, v47
	v_cndmask_b32_e32 v5, v6, v5, vcc
	v_mov_b32_e32 v6, 0
	v_mul_f32_e32 v2, v14, v2
	v_cvt_pk_bf8_f32 v6, v5, v5
	v_cmp_nlg_f32_e64 vcc, |v2|, s65
	v_med3_f32 v5, v2, s66, v47
	v_mul_f32_e32 v3, v14, v3
	v_cndmask_b32_e32 v2, v5, v2, vcc
	v_cmp_nlg_f32_e64 vcc, |v3|, s65
	v_med3_f32 v4, v3, s66, v47
	v_mov_b32_e32 v5, 0
	v_cndmask_b32_e32 v3, v4, v3, vcc
	v_mov_b32_e32 v4, 0
	v_cvt_pk_bf8_f32 v4, v3, v3
	v_bfe_u32 v3, v11, 8, 8
	v_cvt_f32_bf8_sdwa v3, v3 src0_sel:BYTE_0
	v_cvt_pk_bf8_f32 v5, v2, v2
	v_mul_f32_e32 v3, v14, v3
	v_lshlrev_b32_e32 v2, 8, v5
	v_cmp_nlg_f32_e64 vcc, |v3|, s65
	v_med3_f32 v5, v3, s66, v47
	v_perm_b32 v2, v2, v6, s67
	v_cndmask_b32_e32 v3, v5, v3, vcc
	v_mov_b32_e32 v5, 0
	v_cvt_pk_bf8_f32 v5, v3, v3
	v_bfe_u32 v6, v11, 16, 8
	v_cvt_f32_bf8_sdwa v6, v6 src0_sel:BYTE_0
	v_lshlrev_b32_e32 v3, 8, v5
	v_lshrrev_b32_e32 v5, 24, v11
	v_cvt_f32_bf8_sdwa v5, v5 src0_sel:BYTE_0
	v_perm_b32 v39, v3, v4, s67
	v_and_b32_e32 v3, 0xff, v12
	v_cvt_f32_bf8_sdwa v3, v3 src0_sel:BYTE_0
	v_mul_f32_e32 v6, v14, v6
	v_cmp_nlg_f32_e64 vcc, |v6|, s65
	v_med3_f32 v7, v6, s66, v47
	v_mul_f32_e32 v5, v14, v5
	v_cndmask_b32_e32 v6, v7, v6, vcc
	v_mov_b32_e32 v7, 0
	v_cvt_pk_bf8_f32 v7, v6, v6
	v_cmp_nlg_f32_e64 vcc, |v5|, s65
	v_med3_f32 v6, v5, s66, v47
	v_mul_f32_e32 v3, v14, v3
	v_cndmask_b32_e32 v5, v6, v5, vcc
	v_cmp_nlg_f32_e64 vcc, |v3|, s65
	v_med3_f32 v4, v3, s66, v47
	v_mov_b32_e32 v6, 0
	v_cndmask_b32_e32 v3, v4, v3, vcc
	v_mov_b32_e32 v4, 0
	v_cvt_pk_bf8_f32 v4, v3, v3
	v_bfe_u32 v3, v12, 8, 8
	v_cvt_pk_bf8_f32 v6, v5, v5
	v_cvt_f32_bf8_sdwa v3, v3 src0_sel:BYTE_0
	v_lshlrev_b32_e32 v5, 8, v6
	v_mul_f32_e32 v3, v14, v3
	v_perm_b32 v38, v5, v7, s67
	v_cmp_nlg_f32_e64 vcc, |v3|, s65
	v_med3_f32 v5, v3, s66, v47
	v_bfe_u32 v6, v12, 16, 8
	v_cndmask_b32_e32 v3, v5, v3, vcc
	v_mov_b32_e32 v5, 0
	v_cvt_pk_bf8_f32 v5, v3, v3
	v_cvt_f32_bf8_sdwa v6, v6 src0_sel:BYTE_0
	v_lshlrev_b32_e32 v3, 8, v5
	v_lshrrev_b32_e32 v5, 24, v12
	v_cvt_f32_bf8_sdwa v5, v5 src0_sel:BYTE_0
	v_perm_b32 v59, v3, v4, s67
	v_and_b32_e32 v3, 0xff, v13
	v_cvt_f32_bf8_sdwa v3, v3 src0_sel:BYTE_0
	v_mul_f32_e32 v6, v14, v6
	v_cmp_nlg_f32_e64 vcc, |v6|, s65
	v_med3_f32 v7, v6, s66, v47
	v_mul_f32_e32 v5, v14, v5
	v_cndmask_b32_e32 v6, v7, v6, vcc
	v_mov_b32_e32 v7, 0
	v_cvt_pk_bf8_f32 v7, v6, v6
	v_cmp_nlg_f32_e64 vcc, |v5|, s65
	v_med3_f32 v6, v5, s66, v47
	v_mul_f32_e32 v3, v14, v3
	v_cndmask_b32_e32 v5, v6, v5, vcc
	v_cmp_nlg_f32_e64 vcc, |v3|, s65
	v_med3_f32 v4, v3, s66, v47
	v_mov_b32_e32 v6, 0
	v_cndmask_b32_e32 v3, v4, v3, vcc
	v_mov_b32_e32 v4, 0
	v_cvt_pk_bf8_f32 v4, v3, v3
	v_bfe_u32 v3, v13, 8, 8
	v_cvt_pk_bf8_f32 v6, v5, v5
	v_cvt_f32_bf8_sdwa v3, v3 src0_sel:BYTE_0
	v_lshlrev_b32_e32 v5, 8, v6
	v_mul_f32_e32 v3, v14, v3
	v_perm_b32 v58, v5, v7, s67
	v_cmp_nlg_f32_e64 vcc, |v3|, s65
	v_med3_f32 v5, v3, s66, v47
	v_bfe_u32 v6, v13, 16, 8
	v_cndmask_b32_e32 v3, v5, v3, vcc
	v_mov_b32_e32 v5, 0
	v_cvt_pk_bf8_f32 v5, v3, v3
	v_cvt_f32_bf8_sdwa v6, v6 src0_sel:BYTE_0
	v_lshlrev_b32_e32 v3, 8, v5
	v_lshrrev_b32_e32 v5, 24, v13
	global_load_dwordx4 v[10:13], v[0:1], off offset:2048 nt
	v_cvt_f32_bf8_sdwa v5, v5 src0_sel:BYTE_0
	v_mul_f32_e32 v6, v14, v6
	v_cmp_nlg_f32_e64 vcc, |v6|, s65
	v_med3_f32 v7, v6, s66, v47
	v_mul_f32_e32 v5, v14, v5
	v_cndmask_b32_e32 v6, v7, v6, vcc
	v_mov_b32_e32 v7, 0
	v_cvt_pk_bf8_f32 v7, v6, v6
	v_cmp_nlg_f32_e64 vcc, |v5|, s65
	v_med3_f32 v6, v5, s66, v47
	v_perm_b32 v3, v3, v4, s67
	v_cndmask_b32_e32 v5, v6, v5, vcc
	v_mov_b32_e32 v6, 0
	v_cvt_pk_bf8_f32 v6, v5, v5
	v_lshlrev_b32_e32 v5, 8, v6
	v_perm_b32 v43, v5, v7, s67
	s_waitcnt vmcnt(0)
	v_and_b32_e32 v4, 0xff, v10
	v_cvt_f32_bf8_sdwa v4, v4 src0_sel:BYTE_0
	v_bfe_u32 v7, v10, 16, 8
	v_cvt_f32_bf8_sdwa v7, v7 src0_sel:BYTE_0
	v_mul_f32_e32 v4, v14, v4
	v_cmp_nlg_f32_e64 vcc, |v4|, s65
	v_med3_f32 v5, v4, s66, v47
	v_mul_f32_e32 v7, v14, v7
	v_cndmask_b32_e32 v4, v5, v4, vcc
	v_mov_b32_e32 v5, 0
	v_cvt_pk_bf8_f32 v5, v4, v4
	v_bfe_u32 v4, v10, 8, 8
	v_cvt_f32_bf8_sdwa v4, v4 src0_sel:BYTE_0
	v_med3_f32 v8, v7, s66, v47
	v_mul_f32_e32 v4, v14, v4
	v_cmp_nlg_f32_e64 vcc, |v4|, s65
	v_med3_f32 v6, v4, s66, v47
	s_nop 0
	v_cndmask_b32_e32 v4, v6, v4, vcc
	v_mov_b32_e32 v6, 0
	v_cvt_pk_bf8_f32 v6, v4, v4
	v_cmp_nlg_f32_e64 vcc, |v7|, s65
	v_lshlrev_b32_e32 v4, 8, v6
	v_lshrrev_b32_e32 v6, 24, v10
	v_cvt_f32_bf8_sdwa v6, v6 src0_sel:BYTE_0
	v_perm_b32 v45, v4, v5, s67
	v_and_b32_e32 v4, 0xff, v11
	v_cvt_f32_bf8_sdwa v4, v4 src0_sel:BYTE_0
	v_cndmask_b32_e32 v7, v8, v7, vcc
	v_mov_b32_e32 v8, 0
	v_mul_f32_e32 v6, v14, v6
	v_cvt_pk_bf8_f32 v8, v7, v7
	v_cmp_nlg_f32_e64 vcc, |v6|, s65
	v_med3_f32 v7, v6, s66, v47
	v_mul_f32_e32 v4, v14, v4
	v_cndmask_b32_e32 v6, v7, v6, vcc
	v_cmp_nlg_f32_e64 vcc, |v4|, s65
	v_med3_f32 v5, v4, s66, v47
	v_mov_b32_e32 v7, 0
	v_cndmask_b32_e32 v4, v5, v4, vcc
	v_mov_b32_e32 v5, 0
	v_cvt_pk_bf8_f32 v5, v4, v4
	v_bfe_u32 v4, v11, 8, 8
	v_cvt_pk_bf8_f32 v7, v6, v6
	v_cvt_f32_bf8_sdwa v4, v4 src0_sel:BYTE_0
	v_lshlrev_b32_e32 v6, 8, v7
	v_mul_f32_e32 v4, v14, v4
	v_perm_b32 v44, v6, v8, s67
	v_cmp_nlg_f32_e64 vcc, |v4|, s65
	v_med3_f32 v6, v4, s66, v47
	v_bfe_u32 v7, v11, 16, 8
	v_cndmask_b32_e32 v4, v6, v4, vcc
	v_mov_b32_e32 v6, 0
	v_cvt_pk_bf8_f32 v6, v4, v4
	v_cvt_f32_bf8_sdwa v7, v7 src0_sel:BYTE_0
	v_lshlrev_b32_e32 v4, 8, v6
	v_lshrrev_b32_e32 v6, 24, v11
	v_cvt_f32_bf8_sdwa v6, v6 src0_sel:BYTE_0
	v_perm_b32 v9, v4, v5, s67
	v_and_b32_e32 v4, 0xff, v12
	v_cvt_f32_bf8_sdwa v4, v4 src0_sel:BYTE_0
	v_mul_f32_e32 v7, v14, v7
	v_cmp_nlg_f32_e64 vcc, |v7|, s65
	v_med3_f32 v8, v7, s66, v47
	v_mul_f32_e32 v6, v14, v6
	v_cndmask_b32_e32 v7, v8, v7, vcc
	v_mov_b32_e32 v8, 0
	v_cvt_pk_bf8_f32 v8, v7, v7
	v_cmp_nlg_f32_e64 vcc, |v6|, s65
	v_med3_f32 v7, v6, s66, v47
	v_mul_f32_e32 v4, v14, v4
	v_cndmask_b32_e32 v6, v7, v6, vcc
	v_cmp_nlg_f32_e64 vcc, |v4|, s65
	v_med3_f32 v5, v4, s66, v47
	v_mov_b32_e32 v7, 0
	v_cndmask_b32_e32 v4, v5, v4, vcc
	v_mov_b32_e32 v5, 0
	v_cvt_pk_bf8_f32 v5, v4, v4
	v_bfe_u32 v4, v12, 8, 8
	v_cvt_pk_bf8_f32 v7, v6, v6
	v_cvt_f32_bf8_sdwa v4, v4 src0_sel:BYTE_0
	v_bfe_u32 v11, v13, 16, 8
	v_cvt_f32_bf8_sdwa v11, v11 src0_sel:BYTE_0
	v_lshlrev_b32_e32 v6, 8, v7
	v_mul_f32_e32 v4, v14, v4
	v_perm_b32 v8, v6, v8, s67
	v_cmp_nlg_f32_e64 vcc, |v4|, s65
	v_med3_f32 v6, v4, s66, v47
	v_bfe_u32 v7, v12, 16, 8
	v_cndmask_b32_e32 v4, v6, v4, vcc
	v_mov_b32_e32 v6, 0
	v_cvt_pk_bf8_f32 v6, v4, v4
	v_cvt_f32_bf8_sdwa v7, v7 src0_sel:BYTE_0
	v_mul_f32_e32 v11, v14, v11
	v_lshlrev_b32_e32 v4, 8, v6
	v_lshrrev_b32_e32 v6, 24, v12
	v_cvt_f32_bf8_sdwa v6, v6 src0_sel:BYTE_0
	v_mul_f32_e32 v7, v14, v7
	v_cmp_nlg_f32_e64 vcc, |v7|, s65
	v_med3_f32 v10, v7, s66, v47
	v_mul_f32_e32 v6, v14, v6
	v_cndmask_b32_e32 v7, v10, v7, vcc
	v_mov_b32_e32 v10, 0
	v_cvt_pk_bf8_f32 v10, v7, v7
	v_cmp_nlg_f32_e64 vcc, |v6|, s65
	v_med3_f32 v7, v6, s66, v47
	v_med3_f32 v12, v11, s66, v47
	v_cndmask_b32_e32 v6, v7, v6, vcc
	v_mov_b32_e32 v7, 0
	v_cvt_pk_bf8_f32 v7, v6, v6
	v_lshlrev_b32_e32 v6, 8, v7
	v_perm_b32 v7, v4, v5, s67
	v_and_b32_e32 v4, 0xff, v13
	v_cvt_f32_bf8_sdwa v4, v4 src0_sel:BYTE_0
	v_perm_b32 v6, v6, v10, s67
	v_mul_f32_e32 v4, v14, v4
	v_cmp_nlg_f32_e64 vcc, |v4|, s65
	v_med3_f32 v5, v4, s66, v47
	s_nop 0
	v_cndmask_b32_e32 v4, v5, v4, vcc
	v_mov_b32_e32 v5, 0
	v_cvt_pk_bf8_f32 v5, v4, v4
	v_bfe_u32 v4, v13, 8, 8
	v_cvt_f32_bf8_sdwa v4, v4 src0_sel:BYTE_0
	s_nop 0
	v_mul_f32_e32 v4, v14, v4
	v_cmp_nlg_f32_e64 vcc, |v4|, s65
	v_med3_f32 v10, v4, s66, v47
	s_nop 0
	v_cndmask_b32_e32 v4, v10, v4, vcc
	v_mov_b32_e32 v10, 0
	v_cvt_pk_bf8_f32 v10, v4, v4
	v_lshrrev_b32_e32 v4, 24, v13
	v_cvt_f32_bf8_sdwa v4, v4 src0_sel:BYTE_0
	v_cmp_nlg_f32_e64 vcc, |v11|, s65
	v_lshlrev_b32_e32 v10, 8, v10
	v_perm_b32 v5, v10, v5, s67
	v_cndmask_b32_e32 v11, v12, v11, vcc
	v_mov_b32_e32 v12, 0
	v_mul_f32_e32 v4, v14, v4
	v_cvt_pk_bf8_f32 v12, v11, v11
	v_cmp_nlg_f32_e64 vcc, |v4|, s65
	v_med3_f32 v11, v4, s66, v47
	s_nop 0
	v_cndmask_b32_e32 v4, v11, v4, vcc
	v_mov_b32_e32 v11, 0
	v_cvt_pk_bf8_f32 v11, v4, v4
	v_lshlrev_b32_e32 v4, 8, v11
	v_perm_b32 v4, v4, v12, s67
	global_load_dwordx4 v[10:13], v[0:1], off offset:3072 nt
	s_waitcnt vmcnt(0)
	v_and_b32_e32 v15, 0xff, v10
	v_cvt_f32_bf8_sdwa v15, v15 src0_sel:BYTE_0
	s_nop 0
	v_mul_f32_e32 v15, v14, v15
	v_cmp_nlg_f32_e64 vcc, |v15|, s65
	v_med3_f32 v16, v15, s66, v47
	s_nop 0
	v_cndmask_b32_e32 v15, v16, v15, vcc
	v_mov_b32_e32 v16, 0
	v_cvt_pk_bf8_f32 v16, v15, v15
	v_bfe_u32 v15, v10, 8, 8
	v_cvt_f32_bf8_sdwa v15, v15 src0_sel:BYTE_0
	s_nop 0
	v_mul_f32_e32 v15, v14, v15
	v_cmp_nlg_f32_e64 vcc, |v15|, s65
	v_med3_f32 v17, v15, s66, v47
	s_nop 0
	v_cndmask_b32_e32 v15, v17, v15, vcc
	v_mov_b32_e32 v17, 0
	v_cvt_pk_bf8_f32 v17, v15, v15
	v_lshlrev_b32_e32 v15, 8, v17
	v_lshrrev_b32_e32 v17, 24, v10
	v_bfe_u32 v10, v10, 16, 8
	v_cvt_f32_bf8_sdwa v10, v10 src0_sel:BYTE_0
	v_perm_b32 v29, v15, v16, s67
	v_mul_f32_e32 v10, v14, v10
	v_cmp_nlg_f32_e64 vcc, |v10|, s65
	v_med3_f32 v18, v10, s66, v47
	s_nop 0
	v_cndmask_b32_e32 v10, v18, v10, vcc
	v_mov_b32_e32 v18, 0
	v_cvt_pk_bf8_f32 v18, v10, v10
	v_cvt_f32_bf8_sdwa v10, v17 src0_sel:BYTE_0
	s_nop 0
	v_mul_f32_e32 v10, v14, v10
	v_cmp_nlg_f32_e64 vcc, |v10|, s65
	v_med3_f32 v17, v10, s66, v47
	s_nop 0
	v_cndmask_b32_e32 v10, v17, v10, vcc
	v_mov_b32_e32 v17, 0
	v_cvt_pk_bf8_f32 v17, v10, v10
	v_lshlrev_b32_e32 v10, 8, v17
	v_perm_b32 v28, v10, v18, s67
	v_and_b32_e32 v10, 0xff, v11
	v_cvt_f32_bf8_sdwa v10, v10 src0_sel:BYTE_0
	s_nop 0
	v_mul_f32_e32 v10, v14, v10
	v_cmp_nlg_f32_e64 vcc, |v10|, s65
	v_med3_f32 v15, v10, s66, v47
	s_nop 0
	v_cndmask_b32_e32 v10, v15, v10, vcc
	v_mov_b32_e32 v15, 0
	v_cvt_pk_bf8_f32 v15, v10, v10
	v_bfe_u32 v10, v11, 8, 8
	v_cvt_f32_bf8_sdwa v10, v10 src0_sel:BYTE_0
	s_nop 0
	v_mul_f32_e32 v10, v14, v10
	v_cmp_nlg_f32_e64 vcc, |v10|, s65
	v_med3_f32 v16, v10, s66, v47
	s_nop 0
	v_cndmask_b32_e32 v10, v16, v10, vcc
	v_mov_b32_e32 v16, 0
	v_cvt_pk_bf8_f32 v16, v10, v10
	v_lshlrev_b32_e32 v10, 8, v16
	v_lshrrev_b32_e32 v16, 24, v11
	v_bfe_u32 v11, v11, 16, 8
	v_cvt_f32_bf8_sdwa v11, v11 src0_sel:BYTE_0
	v_perm_b32 v37, v10, v15, s67
	v_and_b32_e32 v10, 0xff, v12
	v_cvt_f32_bf8_sdwa v10, v10 src0_sel:BYTE_0
	v_mul_f32_e32 v11, v14, v11
	v_cmp_nlg_f32_e64 vcc, |v11|, s65
	v_med3_f32 v17, v11, s66, v47
	v_mul_f32_e32 v10, v14, v10
	v_cndmask_b32_e32 v11, v17, v11, vcc
	v_mov_b32_e32 v17, 0
	v_cvt_pk_bf8_f32 v17, v11, v11
	v_cvt_f32_bf8_sdwa v11, v16 src0_sel:BYTE_0
	s_nop 0
	v_mul_f32_e32 v11, v14, v11
	v_cmp_nlg_f32_e64 vcc, |v11|, s65
	v_med3_f32 v16, v11, s66, v47
	s_nop 0
	v_cndmask_b32_e32 v11, v16, v11, vcc
	v_mov_b32_e32 v16, 0
	v_cvt_pk_bf8_f32 v16, v11, v11
	v_cmp_nlg_f32_e64 vcc, |v10|, s65
	v_lshlrev_b32_e32 v11, 8, v16
	v_perm_b32 v36, v11, v17, s67
	v_med3_f32 v11, v10, s66, v47
	v_cndmask_b32_e32 v10, v11, v10, vcc
	v_mov_b32_e32 v11, 0
	v_cvt_pk_bf8_f32 v11, v10, v10
	v_bfe_u32 v10, v12, 8, 8
	v_cvt_f32_bf8_sdwa v10, v10 src0_sel:BYTE_0
	s_nop 0
	v_mul_f32_e32 v10, v14, v10
	v_cmp_nlg_f32_e64 vcc, |v10|, s65
	v_med3_f32 v15, v10, s66, v47
	s_nop 0
	v_cndmask_b32_e32 v10, v15, v10, vcc
	v_mov_b32_e32 v15, 0
	v_cvt_pk_bf8_f32 v15, v10, v10
	v_lshlrev_b32_e32 v10, 8, v15
	v_lshrrev_b32_e32 v15, 24, v12
	v_bfe_u32 v12, v12, 16, 8
	v_cvt_f32_bf8_sdwa v12, v12 src0_sel:BYTE_0
	v_perm_b32 v52, v10, v11, s67
	v_and_b32_e32 v10, 0xff, v13
	v_cvt_f32_bf8_sdwa v10, v10 src0_sel:BYTE_0
	v_mul_f32_e32 v12, v14, v12
	v_cmp_nlg_f32_e64 vcc, |v12|, s65
	v_med3_f32 v16, v12, s66, v47
	v_mul_f32_e32 v10, v14, v10
	v_cndmask_b32_e32 v12, v16, v12, vcc
	v_mov_b32_e32 v16, 0
	v_cvt_pk_bf8_f32 v16, v12, v12
	v_cvt_f32_bf8_sdwa v12, v15 src0_sel:BYTE_0
	v_med3_f32 v11, v10, s66, v47
	v_mul_f32_e32 v12, v14, v12
	v_cmp_nlg_f32_e64 vcc, |v12|, s65
	v_med3_f32 v15, v12, s66, v47
	s_nop 0
	v_cndmask_b32_e32 v12, v15, v12, vcc
	v_cmp_nlg_f32_e64 vcc, |v10|, s65
	v_mov_b32_e32 v15, 0
	v_cvt_pk_bf8_f32 v15, v12, v12
	v_cndmask_b32_e32 v10, v11, v10, vcc
	v_mov_b32_e32 v11, 0
	v_cvt_pk_bf8_f32 v11, v10, v10
	v_bfe_u32 v10, v13, 8, 8
	v_cvt_f32_bf8_sdwa v10, v10 src0_sel:BYTE_0
	v_lshlrev_b32_e32 v12, 8, v15
	v_perm_b32 v33, v12, v16, s67
	v_mul_f32_e32 v10, v14, v10
	v_cmp_nlg_f32_e64 vcc, |v10|, s65
	v_med3_f32 v12, v10, s66, v47
	s_nop 0
	v_cndmask_b32_e32 v10, v12, v10, vcc
	v_mov_b32_e32 v12, 0
	v_cvt_pk_bf8_f32 v12, v10, v10
	v_lshlrev_b32_e32 v10, 8, v12
	v_lshrrev_b32_e32 v12, 24, v13
	v_bfe_u32 v13, v13, 16, 8
	v_cvt_f32_bf8_sdwa v13, v13 src0_sel:BYTE_0
	v_cvt_f32_bf8_sdwa v12, v12 src0_sel:BYTE_0
	v_perm_b32 v53, v10, v11, s67
	v_mul_f32_e32 v13, v14, v13
	v_cmp_nlg_f32_e64 vcc, |v13|, s65
	v_med3_f32 v15, v13, s66, v47
	v_mul_f32_e32 v12, v14, v12
	v_cndmask_b32_e32 v13, v15, v13, vcc
	v_mov_b32_e32 v15, 0
	v_cvt_pk_bf8_f32 v15, v13, v13
	v_cmp_nlg_f32_e64 vcc, |v12|, s65
	v_med3_f32 v13, v12, s66, v47
	s_nop 0
	v_cndmask_b32_e32 v12, v13, v12, vcc
	v_mov_b32_e32 v13, 0
	v_cvt_pk_bf8_f32 v13, v12, v12
	v_lshlrev_b32_e32 v12, 8, v13
	v_perm_b32 v35, v12, v15, s67
	global_load_dwordx4 v[10:13], v[30:31], off nt
	global_load_dwordx4 v[14:17], v[30:31], off offset:1024 nt
	global_load_dwordx4 v[18:21], v[30:31], off offset:2048 nt
	;; [unrolled: 1-line block ×3, first 2 shown]
	s_waitcnt vmcnt(3)
	v_lshrrev_b32_e32 v60, 16, v10
	v_and_b32_e32 v10, 0xffff, v10
	v_cvt_pk_f32_bf8_e32 v[56:57], v10
	;;#ASMSTART
	v_pk_add_f32 v[40:41], v[40:41], v[56:57]
	;;#ASMEND
	v_mov_b32_e32 v10, 0
	v_cvt_pk_bf8_f32 v10, v40, v41
	v_cvt_pk_f32_bf8_e32 v[40:41], v42
	v_mov_b32_e32 v42, 0
	v_cvt_pk_f32_bf8_e32 v[56:57], v60
	;;#ASMSTART
	v_pk_add_f32 v[40:41], v[40:41], v[56:57]
	;;#ASMEND
	v_and_b32_e32 v10, 0xffff, v10
	v_cvt_pk_bf8_f32 v42, v40, v41
	v_cvt_pk_f32_bf8_e32 v[40:41], v27
	v_cvt_pk_f32_bf8_e32 v[26:27], v26
	v_lshl_or_b32 v10, v42, 16, v10
	v_lshrrev_b32_e32 v42, 16, v11
	v_and_b32_e32 v11, 0xffff, v11
	v_cvt_pk_f32_bf8_e32 v[56:57], v11
	;;#ASMSTART
	v_pk_add_f32 v[40:41], v[40:41], v[56:57]
	;;#ASMEND
	v_mov_b32_e32 v11, 0
	v_cvt_pk_bf8_f32 v11, v40, v41
	v_cvt_pk_f32_bf8_e32 v[40:41], v42
	;;#ASMSTART
	v_pk_add_f32 v[26:27], v[26:27], v[40:41]
	;;#ASMEND
	v_mov_b32_e32 v40, 0
	v_cvt_pk_bf8_f32 v40, v26, v27
	v_and_b32_e32 v11, 0xffff, v11
	v_lshrrev_b32_e32 v42, 16, v12
	v_cvt_pk_f32_bf8_e32 v[26:27], v55
	v_and_b32_e32 v12, 0xffff, v12
	v_lshl_or_b32 v11, v40, 16, v11
	v_cvt_pk_f32_bf8_e32 v[40:41], v12
	;;#ASMSTART
	v_pk_add_f32 v[26:27], v[26:27], v[40:41]
	;;#ASMEND
	v_mov_b32_e32 v12, 0
	v_cvt_pk_bf8_f32 v12, v26, v27
	v_cvt_pk_f32_bf8_e32 v[26:27], v54
	v_cvt_pk_f32_bf8_e32 v[54:55], v42
	;;#ASMSTART
	v_pk_add_f32 v[26:27], v[26:27], v[54:55]
	;;#ASMEND
	v_mov_b32_e32 v54, 0
	v_cvt_pk_bf8_f32 v54, v26, v27
	v_and_b32_e32 v12, 0xffff, v12
	v_lshrrev_b32_e32 v40, 16, v13
	v_cvt_pk_f32_bf8_e32 v[26:27], v49
	v_and_b32_e32 v13, 0xffff, v13
	v_lshl_or_b32 v12, v54, 16, v12
	v_cvt_pk_f32_bf8_e32 v[54:55], v13
	;;#ASMSTART
	v_pk_add_f32 v[26:27], v[26:27], v[54:55]
	;;#ASMEND
	v_mov_b32_e32 v13, 0
	v_cvt_pk_bf8_f32 v13, v26, v27
	v_cvt_pk_f32_bf8_e32 v[26:27], v48
	v_cvt_pk_f32_bf8_e32 v[48:49], v40
	;;#ASMSTART
	v_pk_add_f32 v[26:27], v[26:27], v[48:49]
	;;#ASMEND
	v_mov_b32_e32 v48, 0
	v_cvt_pk_bf8_f32 v48, v26, v27
	v_and_b32_e32 v13, 0xffff, v13
	s_waitcnt vmcnt(2)
	v_lshrrev_b32_e32 v54, 16, v14
	v_cvt_pk_f32_bf8_e32 v[26:27], v34
	v_and_b32_e32 v14, 0xffff, v14
	v_lshl_or_b32 v13, v48, 16, v13
	v_cvt_pk_f32_bf8_e32 v[48:49], v14
	;;#ASMSTART
	v_pk_add_f32 v[26:27], v[26:27], v[48:49]
	;;#ASMEND
	v_mov_b32_e32 v14, 0
	v_cvt_pk_bf8_f32 v14, v26, v27
	v_cvt_pk_f32_bf8_e32 v[26:27], v2
	v_mov_b32_e32 v2, 0
	v_cvt_pk_f32_bf8_e32 v[48:49], v54
	;;#ASMSTART
	v_pk_add_f32 v[26:27], v[26:27], v[48:49]
	;;#ASMEND
	v_and_b32_e32 v14, 0xffff, v14
	v_cvt_pk_bf8_f32 v2, v26, v27
	v_cvt_pk_f32_bf8_e32 v[26:27], v39
	v_lshrrev_b32_e32 v34, 16, v17
	v_and_b32_e32 v17, 0xffff, v17
	v_lshl_or_b32 v14, v2, 16, v14
	v_lshrrev_b32_e32 v2, 16, v15
	v_and_b32_e32 v15, 0xffff, v15
	v_cvt_pk_f32_bf8_e32 v[48:49], v15
	;;#ASMSTART
	v_pk_add_f32 v[26:27], v[26:27], v[48:49]
	;;#ASMEND
	v_mov_b32_e32 v15, 0
	v_cvt_pk_bf8_f32 v15, v26, v27
	v_cvt_pk_f32_bf8_e32 v[26:27], v38
	v_cvt_pk_f32_bf8_e32 v[38:39], v2
	v_mov_b32_e32 v2, 0
	;;#ASMSTART
	v_pk_add_f32 v[26:27], v[26:27], v[38:39]
	;;#ASMEND
	v_and_b32_e32 v15, 0xffff, v15
	v_cvt_pk_bf8_f32 v2, v26, v27
	v_cvt_pk_f32_bf8_e32 v[26:27], v59
	v_cvt_pk_f32_bf8_e32 v[54:55], v53
	v_lshl_or_b32 v15, v2, 16, v15
	v_lshrrev_b32_e32 v2, 16, v16
	v_and_b32_e32 v16, 0xffff, v16
	v_cvt_pk_f32_bf8_e32 v[38:39], v16
	;;#ASMSTART
	v_pk_add_f32 v[26:27], v[26:27], v[38:39]
	;;#ASMEND
	v_mov_b32_e32 v16, 0
	v_cvt_pk_bf8_f32 v16, v26, v27
	v_cvt_pk_f32_bf8_e32 v[26:27], v58
	v_cvt_pk_f32_bf8_e32 v[38:39], v2
	v_mov_b32_e32 v2, 0
	;;#ASMSTART
	v_pk_add_f32 v[26:27], v[26:27], v[38:39]
	;;#ASMEND
	v_and_b32_e32 v16, 0xffff, v16
	v_cvt_pk_bf8_f32 v2, v26, v27
	v_cvt_pk_f32_bf8_e32 v[26:27], v17
	v_mov_b32_e32 v17, 0
	v_lshl_or_b32 v16, v2, 16, v16
	v_cvt_pk_f32_bf8_e32 v[2:3], v3
	;;#ASMSTART
	v_pk_add_f32 v[2:3], v[2:3], v[26:27]
	;;#ASMEND
	v_cvt_pk_f32_bf8_e32 v[26:27], v34
	v_cvt_pk_bf8_f32 v17, v2, v3
	v_cvt_pk_f32_bf8_e32 v[2:3], v43
	;;#ASMSTART
	v_pk_add_f32 v[2:3], v[2:3], v[26:27]
	;;#ASMEND
	v_mov_b32_e32 v26, 0
	v_cvt_pk_bf8_f32 v26, v2, v3
	v_and_b32_e32 v2, 0xffff, v17
	s_waitcnt vmcnt(1)
	v_lshrrev_b32_e32 v34, 16, v18
	v_and_b32_e32 v18, 0xffff, v18
	v_lshl_or_b32 v17, v26, 16, v2
	v_cvt_pk_f32_bf8_e32 v[2:3], v45
	v_cvt_pk_f32_bf8_e32 v[26:27], v18
	;;#ASMSTART
	v_pk_add_f32 v[2:3], v[2:3], v[26:27]
	;;#ASMEND
	v_mov_b32_e32 v18, 0
	v_cvt_pk_bf8_f32 v18, v2, v3
	v_cvt_pk_f32_bf8_e32 v[2:3], v44
	v_cvt_pk_f32_bf8_e32 v[26:27], v34
	;;#ASMSTART
	v_pk_add_f32 v[2:3], v[2:3], v[26:27]
	;;#ASMEND
	v_mov_b32_e32 v26, 0
	v_cvt_pk_bf8_f32 v26, v2, v3
	v_and_b32_e32 v2, 0xffff, v18
	v_lshrrev_b32_e32 v34, 16, v19
	v_lshl_or_b32 v18, v26, 16, v2
	v_cvt_pk_f32_bf8_e32 v[2:3], v9
	v_and_b32_e32 v9, 0xffff, v19
	v_cvt_pk_f32_bf8_e32 v[26:27], v9
	;;#ASMSTART
	v_pk_add_f32 v[2:3], v[2:3], v[26:27]
	;;#ASMEND
	v_mov_b32_e32 v19, 0
	v_cvt_pk_bf8_f32 v19, v2, v3
	v_cvt_pk_f32_bf8_e32 v[2:3], v8
	v_cvt_pk_f32_bf8_e32 v[8:9], v34
	;;#ASMSTART
	v_pk_add_f32 v[2:3], v[2:3], v[8:9]
	;;#ASMEND
	v_mov_b32_e32 v8, 0
	v_cvt_pk_bf8_f32 v8, v2, v3
	v_and_b32_e32 v2, 0xffff, v19
	v_lshrrev_b32_e32 v26, 16, v20
	v_lshl_or_b32 v19, v8, 16, v2
	v_cvt_pk_f32_bf8_e32 v[2:3], v7
	v_and_b32_e32 v7, 0xffff, v20
	;; [unrolled: 18-line block ×3, first 2 shown]
	v_cvt_pk_f32_bf8_e32 v[6:7], v5
	;;#ASMSTART
	v_pk_add_f32 v[2:3], v[2:3], v[6:7]
	;;#ASMEND
	v_mov_b32_e32 v6, 0
	v_cvt_pk_bf8_f32 v6, v2, v3
	v_cvt_pk_f32_bf8_e32 v[2:3], v4
	v_cvt_pk_f32_bf8_e32 v[4:5], v8
	;;#ASMSTART
	v_pk_add_f32 v[2:3], v[2:3], v[4:5]
	;;#ASMEND
	v_mov_b32_e32 v4, 0
	v_cvt_pk_bf8_f32 v4, v2, v3
	v_and_b32_e32 v2, 0xffff, v6
	s_waitcnt vmcnt(0)
	v_lshrrev_b32_e32 v6, 16, v22
	v_mov_b32_e32 v7, 0
	v_lshl_or_b32 v21, v4, 16, v2
	v_cvt_pk_f32_bf8_e32 v[2:3], v29
	v_and_b32_e32 v4, 0xffff, v22
	v_cvt_pk_f32_bf8_e32 v[4:5], v4
	;;#ASMSTART
	v_pk_add_f32 v[2:3], v[2:3], v[4:5]
	;;#ASMEND
	v_cvt_pk_f32_bf8_e32 v[4:5], v6
	v_cvt_pk_bf8_f32 v7, v2, v3
	v_cvt_pk_f32_bf8_e32 v[2:3], v28
	;;#ASMSTART
	v_pk_add_f32 v[2:3], v[2:3], v[4:5]
	;;#ASMEND
	v_mov_b32_e32 v4, 0
	v_cvt_pk_bf8_f32 v4, v2, v3
	v_and_b32_e32 v2, 0xffff, v7
	v_lshrrev_b32_e32 v6, 16, v23
	v_mov_b32_e32 v7, 0
	v_lshl_or_b32 v22, v4, 16, v2
	v_cvt_pk_f32_bf8_e32 v[2:3], v37
	v_and_b32_e32 v4, 0xffff, v23
	v_cvt_pk_f32_bf8_e32 v[4:5], v4
	;;#ASMSTART
	v_pk_add_f32 v[2:3], v[2:3], v[4:5]
	;;#ASMEND
	v_cvt_pk_f32_bf8_e32 v[4:5], v6
	v_cvt_pk_bf8_f32 v7, v2, v3
	v_cvt_pk_f32_bf8_e32 v[2:3], v36
	;;#ASMSTART
	v_pk_add_f32 v[2:3], v[2:3], v[4:5]
	;;#ASMEND
	v_mov_b32_e32 v4, 0
	v_cvt_pk_bf8_f32 v4, v2, v3
	v_and_b32_e32 v2, 0xffff, v7
	;; [unrolled: 18-line block ×3, first 2 shown]
	v_and_b32_e32 v3, 0xffff, v25
	v_accvgpr_read_b32 v53, a33
	v_lshl_or_b32 v24, v4, 16, v2
	v_lshrrev_b32_e32 v2, 16, v25
	v_cvt_pk_f32_bf8_e32 v[4:5], v3
	v_mov_b32_e32 v3, 0
	;;#ASMSTART
	v_pk_add_f32 v[4:5], v[54:55], v[4:5]
	;;#ASMEND
	v_cvt_pk_f32_bf8_e32 v[6:7], v2
	v_cvt_pk_bf8_f32 v3, v4, v5
	v_mov_b32_e32 v2, 0
	v_cvt_pk_f32_bf8_e32 v[4:5], v35
	;;#ASMSTART
	v_pk_add_f32 v[54:55], v[4:5], v[6:7]
	;;#ASMEND
	v_accvgpr_read_b32 v52, a32
	v_cvt_pk_bf8_f32 v2, v54, v55
	v_accvgpr_read_b32 v4, a38
	v_sub_u32_e32 v32, v32, v52
	v_accvgpr_read_b32 v5, a39
	v_and_b32_e32 v3, 0xffff, v3
	v_cmp_gt_i32_e32 vcc, 1, v32
	v_lshl_or_b32 v25, v2, 16, v3
	global_store_dwordx4 v[50:51], v[10:13], off nt
	global_store_dwordx4 v[50:51], v[14:17], off offset:1024 nt
	global_store_dwordx4 v[50:51], v[18:21], off offset:2048 nt
	global_store_dwordx4 v[50:51], v[22:25], off offset:3072 nt
	v_lshl_add_u64 v[0:1], v[0:1], 0, v[4:5]
	v_lshl_add_u64 v[30:31], v[30:31], 0, v[4:5]
	;; [unrolled: 1-line block ×3, first 2 shown]
	s_or_b64 s[40:41], vcc, s[40:41]
	s_andn2_b64 exec, exec, s[40:41]
	s_cbranch_execnz .LBB6_123
; %bb.124:                              ;   in Loop: Header=BB6_49 Depth=1
	s_or_b64 exec, exec, s[40:41]
	v_accvgpr_read_b32 v21, a7
	v_accvgpr_read_b32 v25, a9
	;; [unrolled: 1-line block ×32, first 2 shown]
	v_mov_b32_e32 v40, 1
	v_accvgpr_read_b32 v42, a46
	v_accvgpr_read_b32 v44, a48
	;; [unrolled: 1-line block ×3, first 2 shown]
	v_mov_b32_e32 v57, v62
.LBB6_125:                              ;   in Loop: Header=BB6_49 Depth=1
	s_or_b64 exec, exec, s[18:19]
	v_and_b32_e32 v1, 0x3ffff000, v41
	v_cmp_ne_u32_e32 vcc, v1, v41
	s_mov_b64 s[42:43], 0
	v_mov_b32_e32 v10, 0
                                        ; implicit-def: $vgpr5
                                        ; implicit-def: $vgpr2
                                        ; implicit-def: $vgpr0
	s_and_saveexec_b64 s[40:41], vcc
	s_cbranch_execz .LBB6_133
; %bb.126:                              ;   in Loop: Header=BB6_49 Depth=1
	scratch_load_dword v2, off, s33 offset:200 ; 4-byte Folded Reload
	v_lshlrev_b32_e32 v0, 6, v32
	v_and_b32_e32 v3, 0xfff, v41
	v_and_b32_e32 v4, 0xc00, v41
	v_sub_u32_e32 v4, v3, v4
	v_bfe_u32 v7, v41, 10, 2
	v_cmp_lt_i32_e32 vcc, 15, v4
	s_waitcnt vmcnt(0)
	v_sub_u32_e32 v0, v2, v0
	v_ashrrev_i32_e32 v2, 31, v0
	v_lshrrev_b32_e32 v2, 26, v2
	v_add_u32_e32 v2, v0, v2
	v_ashrrev_i32_e32 v6, 6, v2
	v_and_b32_e32 v2, 0xffffffc0, v2
	v_sub_u32_e32 v8, v0, v2
	v_lshlrev_b32_e32 v0, 4, v8
	v_lshl_add_u32 v0, v6, 10, v0
	v_sub_u32_e32 v5, v3, v0
	v_addc_co_u32_e64 v3, s[18:19], 0, v7, vcc
	v_sub_u32_e32 v3, v3, v6
	v_cmp_lt_i32_e64 s[18:19], 15, v5
	s_and_saveexec_b64 s[42:43], s[18:19]
	s_cbranch_execz .LBB6_130
; %bb.127:                              ;   in Loop: Header=BB6_49 Depth=1
	v_accvgpr_write_b32 a10, v8
	s_trap 2
	ds_read_b128 v[6:9], v0
	ds_read_b64 v[10:11], v0
	v_add_u32_e32 v12, v0, v1
	v_accvgpr_write_b32 a46, v54
	v_accvgpr_write_b32 a27, v15
	;; [unrolled: 1-line block ×4, first 2 shown]
	v_ashrrev_i32_e32 v13, 31, v12
	v_accvgpr_write_b32 a36, v52
	v_accvgpr_write_b32 a41, v41
	v_accvgpr_write_b32 a50, v44
	v_accvgpr_write_b32 a48, v42
	v_accvgpr_write_b32 a47, v55
	v_accvgpr_write_b32 a5, v33
	v_accvgpr_write_b32 a26, v14
	v_accvgpr_write_b32 a25, v39
	v_accvgpr_write_b32 a15, v27
	v_accvgpr_write_b32 a16, v28
	v_accvgpr_write_b32 a17, v29
	v_accvgpr_write_b32 a4, v56
	v_accvgpr_write_b32 a3, v61
	v_accvgpr_write_b32 a0, v57
	s_waitcnt lgkmcnt(1)
	v_lshl_add_u64 v[0:1], v[6:7], 0, v[12:13]
	v_lshl_add_u64 v[18:19], v[8:9], 0, v[12:13]
	s_waitcnt lgkmcnt(0)
	v_lshl_add_u64 v[20:21], v[10:11], 0, v[12:13]
	s_mov_b64 s[46:47], 0
	v_accvgpr_write_b32 a37, v53
	v_mov_b32_e32 v2, v35
.LBB6_128:                              ;   Parent Loop BB6_49 Depth=1
                                        ; =>  This Inner Loop Header: Depth=2
	s_trap 2
	global_load_dwordx4 v[10:13], v[0:1], off nt
	global_load_dwordx4 v[14:17], v[18:19], off nt
	ds_read_b32 v39, v0
	v_mov_b32_e32 v28, 0
	v_mov_b32_e32 v29, 0
	;; [unrolled: 1-line block ×21, first 2 shown]
	v_sub_u32_e32 v5, v5, v2
	s_waitcnt vmcnt(1)
	v_and_b32_e32 v48, 0xff, v10
	s_waitcnt vmcnt(0)
	v_lshrrev_b32_e32 v38, 16, v17
	v_and_b32_e32 v57, 0xffff, v17
	s_waitcnt lgkmcnt(0)
	v_and_b32_e32 v17, 0xff, v39
	v_bfe_u32 v49, v10, 8, 8
	v_lshrrev_b32_e32 v50, 24, v10
	v_bfe_u32 v51, v10, 16, 8
	v_and_b32_e32 v52, 0xff, v11
	v_bfe_u32 v53, v11, 8, 8
	v_lshrrev_b32_e32 v54, 24, v11
	v_bfe_u32 v55, v11, 16, 8
	;; [unrolled: 4-line block ×4, first 2 shown]
	v_cvt_f32_bf8_sdwa v17, v17 src0_sel:BYTE_0
	v_cvt_f32_bf8_sdwa v39, v48 src0_sel:BYTE_0
	;; [unrolled: 1-line block ×17, first 2 shown]
	v_mul_f32_e32 v39, v17, v39
	v_mul_f32_e32 v48, v17, v48
	;; [unrolled: 1-line block ×16, first 2 shown]
	v_med3_f32 v46, v39, s66, v47
	v_cmp_nlg_f32_e64 s[18:19], |v39|, s65
	v_lshrrev_b32_e32 v13, 16, v14
	v_and_b32_e32 v36, 0xffff, v14
	v_cndmask_b32_e64 v39, v46, v39, s[18:19]
	v_med3_f32 v46, v48, s66, v47
	v_cmp_nlg_f32_e64 s[18:19], |v48|, s65
	v_cvt_pk_bf8_f32 v8, v39, v39
	v_lshrrev_b32_e32 v14, 16, v15
	v_cndmask_b32_e64 v48, v46, v48, s[18:19]
	v_med3_f32 v46, v49, s66, v47
	v_cmp_nlg_f32_e64 s[18:19], |v49|, s65
	v_cvt_pk_bf8_f32 v28, v48, v48
	v_and_b32_e32 v15, 0xffff, v15
	v_cndmask_b32_e64 v49, v46, v49, s[18:19]
	v_med3_f32 v46, v50, s66, v47
	v_cmp_nlg_f32_e64 s[18:19], |v50|, s65
	v_cvt_pk_bf8_f32 v22, v49, v49
	v_lshrrev_b32_e32 v37, 16, v16
	v_cndmask_b32_e64 v50, v46, v50, s[18:19]
	v_med3_f32 v46, v51, s66, v47
	v_cmp_nlg_f32_e64 s[18:19], |v51|, s65
	v_cvt_pk_bf8_f32 v29, v50, v50
	v_and_b32_e32 v16, 0xffff, v16
	v_cndmask_b32_e64 v46, v46, v51, s[18:19]
	v_med3_f32 v51, v52, s66, v47
	v_cmp_nlg_f32_e64 s[18:19], |v52|, s65
	v_cvt_pk_bf8_f32 v9, v46, v46
	v_mov_b32_e32 v11, 0
	v_cndmask_b32_e64 v56, v51, v52, s[18:19]
	v_med3_f32 v51, v53, s66, v47
	v_cmp_nlg_f32_e64 s[18:19], |v53|, s65
	v_cvt_pk_bf8_f32 v30, v56, v56
	v_mov_b32_e32 v12, 0
	v_cndmask_b32_e64 v58, v51, v53, s[18:19]
	scratch_load_dwordx2 v[52:53], off, s33 offset:188 ; 8-byte Folded Reload
	v_med3_f32 v51, v54, s66, v47
	v_cmp_nlg_f32_e64 s[18:19], |v54|, s65
	v_cvt_pk_bf8_f32 v24, v58, v58
	v_mov_b32_e32 v10, 0
	v_cndmask_b32_e64 v54, v51, v54, s[18:19]
	v_med3_f32 v51, v55, s66, v47
	v_cmp_nlg_f32_e64 s[18:19], |v55|, s65
	v_cvt_pk_bf8_f32 v31, v54, v54
	v_cvt_pk_f32_bf8_e32 v[48:49], v36
	v_cndmask_b32_e64 v55, v51, v55, s[18:19]
	v_med3_f32 v51, v40, s66, v47
	v_cmp_nlg_f32_e64 s[18:19], |v40|, s65
	v_cvt_pk_bf8_f32 v23, v55, v55
	v_cvt_pk_f32_bf8_e32 v[36:37], v37
	;; [unrolled: 5-line block ×4, first 2 shown]
	v_cndmask_b32_e64 v42, v51, v42, s[18:19]
	v_med3_f32 v51, v43, s66, v47
	v_cmp_nlg_f32_e64 s[18:19], |v43|, s65
	v_cvt_pk_bf8_f32 v33, v42, v42
	s_waitcnt vmcnt(0)
	v_lshl_add_u64 v[0:1], v[0:1], 0, v[52:53]
	scratch_load_dwordx2 v[52:53], off, s33 offset:188 ; 8-byte Folded Reload
	v_cndmask_b32_e64 v43, v51, v43, s[18:19]
	v_med3_f32 v51, v44, s66, v47
	v_cmp_nlg_f32_e64 s[18:19], |v44|, s65
	v_cvt_pk_bf8_f32 v25, v43, v43
	s_waitcnt vmcnt(0)
	v_lshl_add_u64 v[18:19], v[18:19], 0, v[52:53]
	v_cndmask_b32_e64 v44, v51, v44, s[18:19]
	v_med3_f32 v51, v45, s66, v47
	v_cmp_nlg_f32_e64 s[18:19], |v45|, s65
	v_cvt_pk_bf8_f32 v34, v44, v44
	v_accvgpr_read_b32 v53, a37
	v_cndmask_b32_e64 v45, v51, v45, s[18:19]
	v_med3_f32 v51, v17, s66, v47
	v_cmp_nlg_f32_e64 s[18:19], |v17|, s65
	v_cvt_pk_bf8_f32 v27, v45, v45
	v_accvgpr_read_b32 v52, a36
	v_cndmask_b32_e64 v59, v51, v17, s[18:19]
	v_cvt_pk_bf8_f32 v35, v59, v59
	v_cvt_pk_f32_bf8_e32 v[50:51], v13
	v_lshlrev_b32_e32 v13, 8, v28
	v_lshlrev_b32_e32 v28, 8, v29
	;; [unrolled: 1-line block ×8, first 2 shown]
	v_perm_b32 v22, v28, v22, s67
	v_perm_b32 v8, v13, v8, s67
	;; [unrolled: 1-line block ×5, first 2 shown]
	v_sub_u32_e32 v3, v3, v52
	v_cvt_pk_f32_bf8_e32 v[52:53], v15
	v_cvt_pk_f32_bf8_e32 v[14:15], v14
	;; [unrolled: 1-line block ×3, first 2 shown]
	v_perm_b32 v30, v32, v26, s67
	v_perm_b32 v34, v34, v27, s67
	;; [unrolled: 1-line block ×3, first 2 shown]
	v_cvt_pk_f32_bf8_e32 v[8:9], v8
	v_cvt_pk_f32_bf8_e32 v[22:23], v22
	;; [unrolled: 1-line block ×7, first 2 shown]
	;;#ASMSTART
	v_pk_add_f32 v[8:9], v[8:9], v[48:49]
	;;#ASMEND
	;;#ASMSTART
	v_pk_add_f32 v[22:23], v[22:23], v[50:51]
	;;#ASMEND
	;; [unrolled: 3-line block ×7, first 2 shown]
	v_cvt_pk_f32_bf8_e32 v[34:35], v34
	v_cvt_pk_bf8_f32 v6, v8, v9
	v_cvt_pk_bf8_f32 v11, v24, v25
	;; [unrolled: 1-line block ×4, first 2 shown]
	;;#ASMSTART
	v_pk_add_f32 v[30:31], v[34:35], v[38:39]
	;;#ASMEND
	v_cvt_pk_bf8_f32 v7, v22, v23
	v_cvt_pk_bf8_f32 v10, v14, v15
	;; [unrolled: 1-line block ×4, first 2 shown]
	v_and_b32_e32 v6, 0xffff, v6
	v_and_b32_e32 v8, 0xffff, v11
	;; [unrolled: 1-line block ×4, first 2 shown]
	v_lshl_or_b32 v6, v7, 16, v6
	v_lshl_or_b32 v7, v10, 16, v8
	;; [unrolled: 1-line block ×4, first 2 shown]
	global_store_dwordx4 v[20:21], v[6:9], off nt
	scratch_load_dwordx2 v[6:7], off, s33 offset:188 ; 8-byte Folded Reload
	v_cmp_gt_i32_e64 s[18:19], 16, v5
	s_or_b64 s[46:47], s[18:19], s[46:47]
	s_waitcnt vmcnt(0)
	v_lshl_add_u64 v[20:21], v[20:21], 0, v[6:7]
	s_andn2_b64 exec, exec, s[46:47]
	s_cbranch_execnz .LBB6_128
; %bb.129:                              ;   in Loop: Header=BB6_49 Depth=1
	s_or_b64 exec, exec, s[46:47]
	v_accvgpr_read_b32 v21, a7
	v_accvgpr_read_b32 v25, a9
	;; [unrolled: 1-line block ×33, first 2 shown]
	v_mov_b32_e32 v35, v2
	v_accvgpr_read_b32 v50, a44
	v_accvgpr_read_b32 v54, a46
	v_mov_b32_e32 v40, 1
	v_accvgpr_read_b32 v42, a48
	v_accvgpr_read_b32 v44, a50
	;; [unrolled: 1-line block ×4, first 2 shown]
.LBB6_130:                              ;   in Loop: Header=BB6_49 Depth=1
	s_or_b64 exec, exec, s[42:43]
	v_and_b32_e32 v1, 15, v41
	v_cndmask_b32_e32 v5, v4, v1, vcc
	v_cmp_ne_u32_e64 s[18:19], 0, v5
	s_mov_b64 s[42:43], 0
	v_mov_b32_e32 v10, 0
                                        ; implicit-def: $vgpr2
                                        ; implicit-def: $vgpr0
	s_and_saveexec_b64 s[46:47], s[18:19]
	s_cbranch_execz .LBB6_132
; %bb.131:                              ;   in Loop: Header=BB6_49 Depth=1
	v_sub_u32_e32 v1, v4, v1
	v_and_b32_e32 v0, 0x3ffffc00, v41
	v_cndmask_b32_e32 v1, 0, v1, vcc
	v_cmp_lt_i32_e32 vcc, 0, v3
	v_add_u32_e32 v10, v1, v0
	s_mov_b64 s[42:43], exec
	v_cndmask_b32_e32 v0, 0, v52, vcc
	v_sub_u32_e32 v0, v0, v3
	v_lshl_add_u32 v2, v0, 6, v8
	v_ashrrev_i32_e32 v0, 31, v2
	v_lshrrev_b32_e32 v0, 26, v0
	v_add_u32_e32 v0, v2, v0
	v_ashrrev_i32_e32 v0, 6, v0
.LBB6_132:                              ;   in Loop: Header=BB6_49 Depth=1
	s_or_b64 exec, exec, s[46:47]
	s_and_b64 s[42:43], s[42:43], exec
.LBB6_133:                              ;   in Loop: Header=BB6_49 Depth=1
	s_or_b64 exec, exec, s[40:41]
	s_and_saveexec_b64 s[18:19], s[42:43]
	s_cbranch_execz .LBB6_142
.LBB6_134:                              ;   in Loop: Header=BB6_49 Depth=1
	v_ashrrev_i32_e32 v1, 31, v5
	v_lshrrev_b32_e32 v1, 21, v1
	v_add_u32_e32 v1, v5, v1
	v_ashrrev_i32_e32 v3, 11, v1
	v_sub_u32_e32 v32, v3, v0
	v_ashrrev_i32_e32 v1, 31, v2
	v_cmp_lt_i32_e32 vcc, 0, v32
	v_lshrrev_b32_e32 v1, 26, v1
	s_and_saveexec_b64 s[40:41], vcc
	s_cbranch_execz .LBB6_138
; %bb.135:                              ;   in Loop: Header=BB6_49 Depth=1
	v_accvgpr_write_b32 a53, v1
	v_add_u32_e32 v1, v2, v1
	v_and_b32_e32 v1, 0xffffffc0, v1
	v_accvgpr_write_b32 a54, v3
	v_accvgpr_write_b32 a51, v5
	s_trap 2
	v_accvgpr_write_b32 a52, v2
	v_sub_u32_e32 v1, v2, v1
	ds_read_b128 v[2:5], v0
	v_lshlrev_b32_e32 v0, 11, v0
	ds_read_b64 v[6:7], v0
	v_add3_u32 v8, v10, v1, v0
	v_ashrrev_i32_e32 v9, 31, v8
	v_accvgpr_write_b32 a46, v54
	v_accvgpr_write_b32 a27, v15
	;; [unrolled: 1-line block ×4, first 2 shown]
	s_waitcnt lgkmcnt(0)
	v_lshl_add_u64 v[0:1], v[2:3], 0, v[8:9]
	v_lshl_add_u64 v[2:3], v[6:7], 0, s[34:35]
	v_accvgpr_write_b32 a41, v41
	v_accvgpr_write_b32 a50, v44
	;; [unrolled: 1-line block ×14, first 2 shown]
	v_lshl_add_u64 v[10:11], v[4:5], 0, v[8:9]
	v_lshl_add_u64 v[12:13], v[2:3], 0, v[8:9]
	s_mov_b64 s[42:43], 0
.LBB6_136:                              ;   Parent Loop BB6_49 Depth=1
                                        ; =>  This Inner Loop Header: Depth=2
	s_trap 2
	ds_read_b32 v2, v0
	v_mov_b32_e32 v14, 0
	v_mov_b32_e32 v37, 0
	;; [unrolled: 1-line block ×4, first 2 shown]
	s_waitcnt lgkmcnt(0)
	v_and_b32_e32 v2, 0xff, v2
	v_cvt_f32_bf8_sdwa v15, v2 src0_sel:BYTE_0
	flat_load_ubyte v2, v[0:1] nt
	v_mov_b32_e32 v7, 0
	v_mov_b32_e32 v9, 0
	;; [unrolled: 1-line block ×20, first 2 shown]
	s_waitcnt vmcnt(0) lgkmcnt(0)
	v_cvt_f32_bf8_sdwa v2, v2 src0_sel:BYTE_0
	s_nop 0
	v_mul_f32_e32 v2, v15, v2
	v_cmp_nlg_f32_e64 vcc, |v2|, s65
	v_med3_f32 v3, v2, s66, v47
	s_nop 0
	v_cndmask_b32_e32 v2, v3, v2, vcc
	v_cvt_pk_bf8_f32 v14, v2, v2
	flat_load_ubyte v2, v[0:1] offset:64 nt
	v_and_b32_e32 v14, 0xff, v14
	s_waitcnt vmcnt(0) lgkmcnt(0)
	v_cvt_f32_bf8_sdwa v2, v2 src0_sel:BYTE_0
	s_nop 0
	v_mul_f32_e32 v2, v15, v2
	v_cmp_nlg_f32_e64 vcc, |v2|, s65
	v_med3_f32 v3, v2, s66, v47
	s_nop 0
	v_cndmask_b32_e32 v2, v3, v2, vcc
	v_cvt_pk_bf8_f32 v37, v2, v2
	flat_load_ubyte v2, v[0:1] offset:128 nt
	s_waitcnt vmcnt(0) lgkmcnt(0)
	v_cvt_f32_bf8_sdwa v2, v2 src0_sel:BYTE_0
	s_nop 0
	v_mul_f32_e32 v2, v15, v2
	v_cmp_nlg_f32_e64 vcc, |v2|, s65
	v_med3_f32 v3, v2, s66, v47
	s_nop 0
	v_cndmask_b32_e32 v2, v3, v2, vcc
	v_cvt_pk_bf8_f32 v20, v2, v2
	flat_load_ubyte v2, v[0:1] offset:192 nt
	;; [unrolled: 10-line block ×3, first 2 shown]
	v_and_b32_e32 v5, 0xff, v5
	s_waitcnt vmcnt(0) lgkmcnt(0)
	v_cvt_f32_bf8_sdwa v2, v2 src0_sel:BYTE_0
	s_nop 0
	v_mul_f32_e32 v2, v15, v2
	v_cmp_nlg_f32_e64 vcc, |v2|, s65
	v_med3_f32 v3, v2, s66, v47
	s_nop 0
	v_cndmask_b32_e32 v2, v3, v2, vcc
	v_cvt_pk_bf8_f32 v7, v2, v2
	flat_load_ubyte v2, v[0:1] offset:320 nt
	v_and_b32_e32 v7, 0xff, v7
	s_waitcnt vmcnt(0) lgkmcnt(0)
	v_cvt_f32_bf8_sdwa v2, v2 src0_sel:BYTE_0
	s_nop 0
	v_mul_f32_e32 v2, v15, v2
	v_cmp_nlg_f32_e64 vcc, |v2|, s65
	v_med3_f32 v3, v2, s66, v47
	s_nop 0
	v_cndmask_b32_e32 v2, v3, v2, vcc
	v_cvt_pk_bf8_f32 v9, v2, v2
	flat_load_ubyte v2, v[0:1] offset:384 nt
	;; [unrolled: 11-line block ×3, first 2 shown]
	s_waitcnt vmcnt(0) lgkmcnt(0)
	v_cvt_f32_bf8_sdwa v2, v2 src0_sel:BYTE_0
	s_nop 0
	v_mul_f32_e32 v2, v15, v2
	v_cmp_nlg_f32_e64 vcc, |v2|, s65
	v_med3_f32 v3, v2, s66, v47
	s_nop 0
	v_cndmask_b32_e32 v2, v3, v2, vcc
	v_cvt_pk_bf8_f32 v8, v2, v2
	flat_load_ubyte v2, v[0:1] offset:512 nt
	v_and_b32_e32 v8, 0xff, v8
	s_waitcnt vmcnt(0) lgkmcnt(0)
	v_cvt_f32_bf8_sdwa v2, v2 src0_sel:BYTE_0
	s_nop 0
	v_mul_f32_e32 v2, v15, v2
	v_cmp_nlg_f32_e64 vcc, |v2|, s65
	v_med3_f32 v3, v2, s66, v47
	s_nop 0
	v_cndmask_b32_e32 v2, v3, v2, vcc
	v_cvt_pk_bf8_f32 v4, v2, v2
	flat_load_ubyte v2, v[0:1] offset:576 nt
	v_and_b32_e32 v4, 0xff, v4
	s_waitcnt vmcnt(0) lgkmcnt(0)
	v_cvt_f32_bf8_sdwa v2, v2 src0_sel:BYTE_0
	s_nop 0
	v_mul_f32_e32 v2, v15, v2
	v_cmp_nlg_f32_e64 vcc, |v2|, s65
	v_med3_f32 v3, v2, s66, v47
	s_nop 0
	v_cndmask_b32_e32 v2, v3, v2, vcc
	v_cvt_pk_bf8_f32 v59, v2, v2
	flat_load_ubyte v2, v[0:1] offset:640 nt
	s_waitcnt vmcnt(0) lgkmcnt(0)
	v_cvt_f32_bf8_sdwa v2, v2 src0_sel:BYTE_0
	s_nop 0
	v_mul_f32_e32 v2, v15, v2
	v_cmp_nlg_f32_e64 vcc, |v2|, s65
	v_med3_f32 v3, v2, s66, v47
	s_nop 0
	v_cndmask_b32_e32 v2, v3, v2, vcc
	v_cvt_pk_bf8_f32 v46, v2, v2
	flat_load_ubyte v2, v[0:1] offset:704 nt
	;; [unrolled: 10-line block ×5, first 2 shown]
	s_waitcnt vmcnt(0) lgkmcnt(0)
	v_cvt_f32_bf8_sdwa v2, v2 src0_sel:BYTE_0
	s_nop 0
	v_mul_f32_e32 v2, v15, v2
	v_cmp_nlg_f32_e64 vcc, |v2|, s65
	v_med3_f32 v3, v2, s66, v47
	s_nop 0
	v_cndmask_b32_e32 v3, v3, v2, vcc
	v_mov_b32_e32 v2, 0
	v_cvt_pk_bf8_f32 v2, v3, v3
	flat_load_ubyte v3, v[0:1] offset:960 nt
	v_and_b32_e32 v2, 0xff, v2
	s_waitcnt vmcnt(0) lgkmcnt(0)
	v_cvt_f32_bf8_sdwa v3, v3 src0_sel:BYTE_0
	s_nop 0
	v_mul_f32_e32 v3, v15, v3
	v_cmp_nlg_f32_e64 vcc, |v3|, s65
	v_med3_f32 v6, v3, s66, v47
	s_nop 0
	v_cndmask_b32_e32 v6, v6, v3, vcc
	v_mov_b32_e32 v3, 0
	v_cvt_pk_bf8_f32 v3, v6, v6
	flat_load_ubyte v6, v[0:1] offset:1024 nt
	v_and_b32_e32 v3, 0xff, v3
	s_waitcnt vmcnt(0) lgkmcnt(0)
	v_cvt_f32_bf8_sdwa v6, v6 src0_sel:BYTE_0
	s_nop 0
	v_mul_f32_e32 v6, v15, v6
	v_cmp_nlg_f32_e64 vcc, |v6|, s65
	v_med3_f32 v16, v6, s66, v47
	s_nop 0
	v_cndmask_b32_e32 v6, v16, v6, vcc
	v_cvt_pk_bf8_f32 v55, v6, v6
	flat_load_ubyte v6, v[0:1] offset:1088 nt
	s_waitcnt vmcnt(0) lgkmcnt(0)
	v_cvt_f32_bf8_sdwa v6, v6 src0_sel:BYTE_0
	s_nop 0
	v_mul_f32_e32 v6, v15, v6
	v_cmp_nlg_f32_e64 vcc, |v6|, s65
	v_med3_f32 v16, v6, s66, v47
	s_nop 0
	v_cndmask_b32_e32 v6, v16, v6, vcc
	v_cvt_pk_bf8_f32 v54, v6, v6
	flat_load_ubyte v6, v[0:1] offset:1152 nt
	;; [unrolled: 10-line block ×9, first 2 shown]
	s_waitcnt vmcnt(0) lgkmcnt(0)
	v_cvt_f32_bf8_sdwa v6, v6 src0_sel:BYTE_0
	s_nop 0
	v_mul_f32_e32 v6, v15, v6
	v_cmp_nlg_f32_e64 vcc, |v6|, s65
	v_med3_f32 v16, v6, s66, v47
	s_nop 0
	v_cndmask_b32_e32 v16, v16, v6, vcc
	v_mov_b32_e32 v6, 0
	v_cvt_pk_bf8_f32 v6, v16, v16
	flat_load_ubyte v16, v[0:1] offset:1664 nt
	v_and_b32_e32 v6, 0xff, v6
	s_waitcnt vmcnt(0) lgkmcnt(0)
	v_cvt_f32_bf8_sdwa v16, v16 src0_sel:BYTE_0
	s_nop 0
	v_mul_f32_e32 v16, v15, v16
	v_cmp_nlg_f32_e64 vcc, |v16|, s65
	v_med3_f32 v17, v16, s66, v47
	s_nop 0
	v_cndmask_b32_e32 v16, v17, v16, vcc
	v_cvt_pk_bf8_f32 v24, v16, v16
	flat_load_ubyte v16, v[0:1] offset:1728 nt
	s_waitcnt vmcnt(0) lgkmcnt(0)
	v_cvt_f32_bf8_sdwa v16, v16 src0_sel:BYTE_0
	s_nop 0
	v_mul_f32_e32 v16, v15, v16
	v_cmp_nlg_f32_e64 vcc, |v16|, s65
	v_med3_f32 v17, v16, s66, v47
	s_nop 0
	v_cndmask_b32_e32 v16, v17, v16, vcc
	v_mov_b32_e32 v17, 0
	v_cvt_pk_bf8_f32 v17, v16, v16
	flat_load_ubyte v16, v[0:1] offset:1792 nt
	v_accvgpr_write_b32 a59, v17
	s_waitcnt vmcnt(0) lgkmcnt(0)
	v_cvt_f32_bf8_sdwa v16, v16 src0_sel:BYTE_0
	s_nop 0
	v_mul_f32_e32 v16, v15, v16
	v_cmp_nlg_f32_e64 vcc, |v16|, s65
	v_med3_f32 v17, v16, s66, v47
	s_nop 0
	v_cndmask_b32_e32 v16, v17, v16, vcc
	v_mov_b32_e32 v17, 0
	v_cvt_pk_bf8_f32 v17, v16, v16
	flat_load_ubyte v16, v[0:1] offset:1856 nt
	v_accvgpr_write_b32 a58, v17
	;; [unrolled: 12-line block ×3, first 2 shown]
	s_waitcnt vmcnt(0) lgkmcnt(0)
	v_cvt_f32_bf8_sdwa v16, v16 src0_sel:BYTE_0
	s_nop 0
	v_mul_f32_e32 v16, v15, v16
	v_cmp_nlg_f32_e64 vcc, |v16|, s65
	v_med3_f32 v17, v16, s66, v47
	s_nop 0
	v_cndmask_b32_e32 v16, v17, v16, vcc
	v_mov_b32_e32 v17, 0
	v_cvt_pk_bf8_f32 v17, v16, v16
	flat_load_ubyte v16, v[0:1] offset:1984 nt
	flat_load_ubyte v56, v[10:11] nt
	flat_load_ubyte v31, v[10:11] offset:64 nt
	flat_load_ubyte v30, v[10:11] offset:128 nt
	;; [unrolled: 1-line block ×31, first 2 shown]
	v_accvgpr_write_b32 a56, v17
	s_waitcnt vmcnt(0) lgkmcnt(0)
	v_cvt_pk_f32_bf8_e32 v[22:23], v56
	v_cvt_f32_bf8_sdwa v16, v16 src0_sel:BYTE_0
	s_nop 0
	v_mul_f32_e32 v15, v15, v16
	v_cmp_nlg_f32_e64 vcc, |v15|, s65
	v_med3_f32 v16, v15, s66, v47
	s_nop 0
	v_cndmask_b32_e32 v15, v16, v15, vcc
	v_mov_b32_e32 v16, 0
	v_cvt_pk_bf8_f32 v16, v15, v15
	v_cvt_pk_f32_bf8_e32 v[14:15], v14
	;;#ASMSTART
	v_pk_add_f32 v[14:15], v[14:15], v[22:23]
	;;#ASMEND
	v_accvgpr_write_b32 a55, v16
	v_mov_b32_e32 v15, 0
	v_cvt_pk_bf8_f32 v15, v14, v14
	v_cvt_pk_f32_bf8_e32 v[16:17], v31
	v_cvt_f32_i32_e32 v14, v15
	v_med3_f32 v15, v14, s66, v47
	v_mov_b32_e32 v14, 0
	v_cvt_pk_bf8_f32 v14, v15, v15
	v_and_b32_e32 v15, 0xff, v37
	v_cvt_pk_f32_bf8_e32 v[22:23], v15
	v_mov_b32_e32 v15, 0
	;;#ASMSTART
	v_pk_add_f32 v[16:17], v[22:23], v[16:17]
	;;#ASMEND
	v_cvt_pk_f32_bf8_e32 v[22:23], v30
	v_cvt_pk_bf8_f32 v15, v16, v16
	v_mov_b32_e32 v37, 0
	v_cvt_f32_i32_e32 v15, v15
	v_med3_f32 v16, v15, s66, v47
	v_mov_b32_e32 v15, 0
	v_cvt_pk_bf8_f32 v15, v16, v16
	v_and_b32_e32 v16, 0xff, v20
	v_cvt_pk_f32_bf8_e32 v[16:17], v16
	;;#ASMSTART
	v_pk_add_f32 v[16:17], v[16:17], v[22:23]
	;;#ASMEND
	v_mov_b32_e32 v20, 0
	v_mov_b32_e32 v17, 0
	v_cvt_pk_bf8_f32 v17, v16, v16
	v_cvt_pk_f32_bf8_e32 v[22:23], v25
	v_cvt_f32_i32_e32 v16, v17
	v_med3_f32 v16, v16, s66, v47
	v_cvt_pk_bf8_f32 v20, v16, v16
	v_cvt_pk_f32_bf8_e32 v[16:17], v5
	v_mov_b32_e32 v5, 0
	;;#ASMSTART
	v_pk_add_f32 v[16:17], v[16:17], v[22:23]
	;;#ASMEND
	v_cvt_pk_f32_bf8_e32 v[22:23], v36
	v_cvt_pk_bf8_f32 v5, v16, v16
	v_cvt_f32_i32_e32 v5, v5
	v_med3_f32 v16, v5, s66, v47
	v_mov_b32_e32 v5, 0
	v_cvt_pk_bf8_f32 v5, v16, v16
	v_cvt_pk_f32_bf8_e32 v[16:17], v7
	v_mov_b32_e32 v7, 0
	;;#ASMSTART
	v_pk_add_f32 v[16:17], v[16:17], v[22:23]
	;;#ASMEND
	v_cvt_pk_f32_bf8_e32 v[22:23], v45
	v_cvt_pk_bf8_f32 v7, v16, v16
	v_cvt_f32_i32_e32 v7, v7
	v_med3_f32 v16, v7, s66, v47
	v_mov_b32_e32 v7, 0
	;; [unrolled: 11-line block ×3, first 2 shown]
	v_cvt_pk_bf8_f32 v9, v16, v16
	v_and_b32_e32 v16, 0xff, v44
	v_cvt_pk_f32_bf8_e32 v[16:17], v16
	;;#ASMSTART
	v_pk_add_f32 v[16:17], v[16:17], v[22:23]
	;;#ASMEND
	v_mov_b32_e32 v44, 0
	v_mov_b32_e32 v17, 0
	v_cvt_pk_bf8_f32 v17, v16, v16
	v_cvt_pk_f32_bf8_e32 v[22:23], v43
	v_cvt_f32_i32_e32 v16, v17
	v_med3_f32 v16, v16, s66, v47
	v_cvt_pk_bf8_f32 v44, v16, v16
	v_cvt_pk_f32_bf8_e32 v[16:17], v8
	v_mov_b32_e32 v8, 0
	;;#ASMSTART
	v_pk_add_f32 v[16:17], v[16:17], v[22:23]
	;;#ASMEND
	v_cvt_pk_f32_bf8_e32 v[22:23], v39
	v_cvt_pk_bf8_f32 v8, v16, v16
	v_cvt_f32_i32_e32 v8, v8
	v_med3_f32 v16, v8, s66, v47
	v_mov_b32_e32 v8, 0
	v_cvt_pk_bf8_f32 v8, v16, v16
	v_cvt_pk_f32_bf8_e32 v[16:17], v4
	v_mov_b32_e32 v4, 0
	;;#ASMSTART
	v_pk_add_f32 v[16:17], v[16:17], v[22:23]
	;;#ASMEND
	v_cvt_pk_f32_bf8_e32 v[22:23], v19
	v_cvt_pk_bf8_f32 v4, v16, v16
	v_cvt_pk_f32_bf8_e32 v[18:19], v18
	v_cvt_f32_i32_e32 v4, v4
	v_med3_f32 v16, v4, s66, v47
	v_mov_b32_e32 v4, 0
	v_cvt_pk_bf8_f32 v4, v16, v16
	v_and_b32_e32 v16, 0xff, v59
	v_cvt_pk_f32_bf8_e32 v[16:17], v16
	;;#ASMSTART
	v_pk_add_f32 v[16:17], v[16:17], v[22:23]
	;;#ASMEND
	v_mov_b32_e32 v59, 0
	v_mov_b32_e32 v17, 0
	v_cvt_pk_bf8_f32 v17, v16, v16
	v_cvt_pk_f32_bf8_e32 v[22:23], v41
	v_cvt_f32_i32_e32 v16, v17
	v_med3_f32 v16, v16, s66, v47
	v_cvt_pk_bf8_f32 v59, v16, v16
	v_and_b32_e32 v16, 0xff, v46
	v_cvt_pk_f32_bf8_e32 v[16:17], v16
	;;#ASMSTART
	v_pk_add_f32 v[16:17], v[16:17], v[22:23]
	;;#ASMEND
	v_mov_b32_e32 v46, 0
	v_mov_b32_e32 v17, 0
	v_cvt_pk_bf8_f32 v17, v16, v16
	v_cvt_pk_f32_bf8_e32 v[22:23], v40
	v_cvt_f32_i32_e32 v16, v17
	v_med3_f32 v16, v16, s66, v47
	;; [unrolled: 12-line block ×5, first 2 shown]
	v_cvt_pk_bf8_f32 v34, v16, v16
	v_cvt_pk_f32_bf8_e32 v[16:17], v2
	v_mov_b32_e32 v2, 0
	;;#ASMSTART
	v_pk_add_f32 v[16:17], v[16:17], v[22:23]
	;;#ASMEND
	v_cvt_pk_f32_bf8_e32 v[22:23], v33
	v_cvt_pk_bf8_f32 v2, v16, v16
	v_cvt_f32_i32_e32 v2, v2
	v_med3_f32 v16, v2, s66, v47
	v_mov_b32_e32 v2, 0
	v_cvt_pk_bf8_f32 v2, v16, v16
	v_cvt_pk_f32_bf8_e32 v[16:17], v3
	v_mov_b32_e32 v3, 0
	;;#ASMSTART
	v_pk_add_f32 v[16:17], v[16:17], v[22:23]
	;;#ASMEND
	v_cvt_pk_f32_bf8_e32 v[22:23], v61
	v_cvt_pk_bf8_f32 v3, v16, v16
	v_cvt_f32_i32_e32 v3, v3
	v_med3_f32 v3, v3, s66, v47
	v_cvt_pk_bf8_f32 v37, v3, v3
	v_and_b32_e32 v3, 0xff, v55
	v_cvt_pk_f32_bf8_e32 v[16:17], v3
	v_mov_b32_e32 v3, 0
	;;#ASMSTART
	v_pk_add_f32 v[16:17], v[16:17], v[22:23]
	;;#ASMEND
	v_cvt_pk_f32_bf8_e32 v[22:23], v60
	v_cvt_pk_bf8_f32 v3, v16, v16
	v_cvt_f32_i32_e32 v3, v3
	v_med3_f32 v16, v3, s66, v47
	v_mov_b32_e32 v3, 0
	v_cvt_pk_bf8_f32 v3, v16, v16
	v_and_b32_e32 v16, 0xff, v54
	v_cvt_pk_f32_bf8_e32 v[16:17], v16
	;;#ASMSTART
	v_pk_add_f32 v[16:17], v[16:17], v[22:23]
	;;#ASMEND
	v_mov_b32_e32 v54, 0
	v_mov_b32_e32 v17, 0
	v_cvt_pk_bf8_f32 v17, v16, v16
	v_cvt_pk_f32_bf8_e32 v[22:23], v29
	v_mov_b32_e32 v29, 0
	v_cvt_f32_i32_e32 v16, v17
	v_med3_f32 v16, v16, s66, v47
	v_cvt_pk_bf8_f32 v54, v16, v16
	v_and_b32_e32 v16, 0xff, v51
	v_cvt_pk_f32_bf8_e32 v[16:17], v16
	;;#ASMSTART
	v_pk_add_f32 v[16:17], v[16:17], v[22:23]
	;;#ASMEND
	v_cvt_pk_f32_bf8_e32 v[22:23], v57
	v_mov_b32_e32 v17, 0
	v_cvt_pk_bf8_f32 v17, v16, v16
	v_cvt_f32_i32_e32 v16, v17
	v_med3_f32 v16, v16, s66, v47
	v_cvt_pk_bf8_f32 v29, v16, v16
	v_and_b32_e32 v16, 0xff, v50
	v_cvt_pk_f32_bf8_e32 v[16:17], v16
	;;#ASMSTART
	v_pk_add_f32 v[16:17], v[16:17], v[22:23]
	;;#ASMEND
	v_mov_b32_e32 v50, 0
	v_mov_b32_e32 v17, 0
	v_cvt_pk_bf8_f32 v17, v16, v16
	v_cvt_pk_f32_bf8_e32 v[22:23], v21
	v_mov_b32_e32 v21, 0
	v_cvt_f32_i32_e32 v16, v17
	v_med3_f32 v16, v16, s66, v47
	v_cvt_pk_bf8_f32 v50, v16, v16
	v_and_b32_e32 v16, 0xff, v49
	v_cvt_pk_f32_bf8_e32 v[16:17], v16
	;;#ASMSTART
	v_pk_add_f32 v[16:17], v[16:17], v[22:23]
	;;#ASMEND
	v_mov_b32_e32 v49, 0
	v_mov_b32_e32 v17, 0
	v_cvt_pk_bf8_f32 v17, v16, v16
	v_cvt_pk_f32_bf8_e32 v[22:23], v28
	v_mov_b32_e32 v28, 0
	v_cvt_f32_i32_e32 v16, v17
	v_med3_f32 v16, v16, s66, v47
	v_cvt_pk_bf8_f32 v49, v16, v16
	v_and_b32_e32 v16, 0xff, v48
	v_cvt_pk_f32_bf8_e32 v[16:17], v16
	;;#ASMSTART
	v_pk_add_f32 v[16:17], v[16:17], v[22:23]
	;;#ASMEND
	s_nop 0
	v_mov_b32_e32 v17, 0
	v_cvt_pk_bf8_f32 v17, v16, v16
	v_cvt_f32_i32_e32 v16, v17
	v_med3_f32 v16, v16, s66, v47
	v_cvt_pk_bf8_f32 v28, v16, v16
	v_and_b32_e32 v16, 0xff, v27
	v_cvt_pk_f32_bf8_e32 v[16:17], v16
	;;#ASMSTART
	v_pk_add_f32 v[16:17], v[16:17], v[18:19]
	;;#ASMEND
	v_mov_b32_e32 v27, 0
	v_mov_b32_e32 v17, 0
	v_cvt_pk_bf8_f32 v17, v16, v16
	v_accvgpr_read_b32 v18, a11
	v_cvt_pk_f32_bf8_e32 v[18:19], v18
	v_cvt_f32_i32_e32 v16, v17
	v_med3_f32 v16, v16, s66, v47
	v_cvt_pk_bf8_f32 v27, v16, v16
	v_and_b32_e32 v16, 0xff, v26
	v_cvt_pk_f32_bf8_e32 v[16:17], v16
	;;#ASMSTART
	v_pk_add_f32 v[16:17], v[16:17], v[18:19]
	;;#ASMEND
	v_mov_b32_e32 v26, 0
	v_mov_b32_e32 v17, 0
	v_cvt_pk_bf8_f32 v17, v16, v16
	v_cvt_f32_i32_e32 v16, v17
	v_mov_b32_e32 v17, 0
	v_med3_f32 v16, v16, s66, v47
	v_cvt_pk_bf8_f32 v17, v16, v16
	v_and_b32_e32 v16, 0xff, v35
	v_cvt_pk_f32_bf8_e32 v[18:19], v16
	v_accvgpr_read_b32 v16, a10
	v_cvt_pk_f32_bf8_e32 v[22:23], v16
	;;#ASMSTART
	v_pk_add_f32 v[18:19], v[18:19], v[22:23]
	;;#ASMEND
	v_mov_b32_e32 v16, 0
	v_cvt_pk_f32_bf8_e32 v[22:23], v6
	v_accvgpr_read_b32 v6, a37
	v_cvt_pk_bf8_f32 v16, v18, v18
	v_cvt_pk_f32_bf8_e32 v[30:31], v6
	v_mov_b32_e32 v6, 0
	;;#ASMSTART
	v_pk_add_f32 v[22:23], v[22:23], v[30:31]
	;;#ASMEND
	v_cvt_f32_i32_e32 v16, v16
	v_cvt_pk_bf8_f32 v6, v22, v22
	v_mov_b32_e32 v18, 0
	v_med3_f32 v16, v16, s66, v47
	v_cvt_f32_i32_e32 v6, v6
	v_cvt_pk_bf8_f32 v18, v16, v16
	v_mov_b32_e32 v16, 0
	v_med3_f32 v6, v6, s66, v47
	v_cvt_pk_bf8_f32 v16, v6, v6
	v_and_b32_e32 v6, 0xff, v24
	v_cvt_pk_f32_bf8_e32 v[22:23], v6
	v_accvgpr_read_b32 v6, a36
	v_cvt_pk_f32_bf8_e32 v[24:25], v6
	v_mov_b32_e32 v6, 0
	;;#ASMSTART
	v_pk_add_f32 v[22:23], v[22:23], v[24:25]
	;;#ASMEND
	s_nop 0
	v_cvt_pk_bf8_f32 v6, v22, v22
	v_cvt_f32_i32_e32 v6, v6
	v_med3_f32 v6, v6, s66, v47
	v_cvt_pk_bf8_f32 v26, v6, v6
	v_accvgpr_read_b32 v6, a59
	v_and_b32_e32 v6, 0xff, v6
	v_cvt_pk_f32_bf8_e32 v[22:23], v6
	v_accvgpr_read_b32 v6, a34
	v_cvt_pk_f32_bf8_e32 v[24:25], v6
	v_mov_b32_e32 v6, 0
	;;#ASMSTART
	v_pk_add_f32 v[22:23], v[22:23], v[24:25]
	;;#ASMEND
	s_nop 0
	v_cvt_pk_bf8_f32 v6, v22, v22
	v_cvt_f32_i32_e32 v6, v6
	v_med3_f32 v19, v6, s66, v47
	v_mov_b32_e32 v6, 0
	v_cvt_pk_bf8_f32 v6, v19, v19
	v_accvgpr_read_b32 v19, a58
	v_and_b32_e32 v19, 0xff, v19
	v_cvt_pk_f32_bf8_e32 v[22:23], v19
	v_accvgpr_read_b32 v19, a63
	v_cvt_pk_f32_bf8_e32 v[24:25], v19
	v_mov_b32_e32 v19, 0
	;;#ASMSTART
	v_pk_add_f32 v[22:23], v[22:23], v[24:25]
	;;#ASMEND
	s_nop 0
	v_cvt_pk_bf8_f32 v19, v22, v22
	v_cvt_f32_i32_e32 v19, v19
	v_med3_f32 v19, v19, s66, v47
	v_cvt_pk_bf8_f32 v21, v19, v19
	v_accvgpr_read_b32 v19, a57
	v_and_b32_e32 v19, 0xff, v19
	v_cvt_pk_f32_bf8_e32 v[22:23], v19
	v_accvgpr_read_b32 v19, a62
	v_cvt_pk_f32_bf8_e32 v[24:25], v19
	v_mov_b32_e32 v19, 0
	;;#ASMSTART
	v_pk_add_f32 v[22:23], v[22:23], v[24:25]
	;;#ASMEND
	v_mov_b32_e32 v24, 0
	v_cvt_pk_bf8_f32 v19, v22, v22
	v_cvt_f32_i32_e32 v19, v19
	v_med3_f32 v19, v19, s66, v47
	v_cvt_pk_bf8_f32 v24, v19, v19
	v_accvgpr_read_b32 v19, a56
	v_and_b32_e32 v19, 0xff, v19
	v_cvt_pk_f32_bf8_e32 v[22:23], v19
	v_accvgpr_read_b32 v19, a61
	v_cvt_pk_f32_bf8_e32 v[30:31], v19
	v_mov_b32_e32 v19, 0
	;;#ASMSTART
	v_pk_add_f32 v[22:23], v[22:23], v[30:31]
	;;#ASMEND
	s_nop 0
	v_cvt_pk_bf8_f32 v19, v22, v22
	v_mov_b32_e32 v23, 0
	v_mov_b32_e32 v22, 0
	v_cvt_f32_i32_e32 v19, v19
	v_med3_f32 v19, v19, s66, v47
	v_cvt_pk_bf8_f32 v23, v19, v19
	v_accvgpr_read_b32 v19, a55
	v_and_b32_e32 v19, 0xff, v19
	v_cvt_pk_f32_bf8_e32 v[30:31], v19
	v_accvgpr_read_b32 v19, a60
	v_cvt_pk_f32_bf8_e32 v[52:53], v19
	;;#ASMSTART
	v_pk_add_f32 v[30:31], v[30:31], v[52:53]
	;;#ASMEND
	v_mov_b32_e32 v19, 0
	v_cvt_pk_bf8_f32 v19, v30, v30
	v_add_co_u32_e32 v30, vcc, s68, v12
	v_accvgpr_read_b32 v53, a33
	s_nop 0
	v_addc_co_u32_e32 v31, vcc, -1, v13, vcc
	flat_store_byte v[30:31], v14 nt
	v_add_co_u32_e32 v30, vcc, s69, v12
	v_cvt_f32_i32_e32 v19, v19
	s_nop 0
	v_addc_co_u32_e32 v31, vcc, -1, v13, vcc
	v_add_co_u32_e32 v14, vcc, s70, v12
	flat_store_byte v[30:31], v15 nt
	s_nop 0
	v_addc_co_u32_e32 v15, vcc, -1, v13, vcc
	flat_store_byte v[14:15], v20 nt
	v_add_co_u32_e32 v14, vcc, s71, v12
	v_med3_f32 v19, v19, s66, v47
	s_nop 0
	v_addc_co_u32_e32 v15, vcc, -1, v13, vcc
	flat_store_byte v[14:15], v5 nt
	v_add_co_u32_e32 v14, vcc, s72, v12
	v_accvgpr_read_b32 v52, a32
	s_nop 0
	v_addc_co_u32_e32 v15, vcc, -1, v13, vcc
	flat_store_byte v[14:15], v7 nt
	v_add_co_u32_e32 v14, vcc, s73, v12
	v_cvt_pk_bf8_f32 v22, v19, v19
	s_nop 0
	v_addc_co_u32_e32 v15, vcc, -1, v13, vcc
	flat_store_byte v[14:15], v9 nt
	v_add_co_u32_e32 v14, vcc, s74, v12
	v_sub_u32_e32 v32, v32, v52
	s_nop 0
	v_addc_co_u32_e32 v15, vcc, -1, v13, vcc
	flat_store_byte v[14:15], v44 nt
	v_add_co_u32_e32 v14, vcc, s75, v12
	s_nop 1
	v_addc_co_u32_e32 v15, vcc, -1, v13, vcc
	flat_store_byte v[14:15], v8 nt
	v_add_co_u32_e32 v8, vcc, s76, v12
	;; [unrolled: 4-line block ×10, first 2 shown]
	s_nop 1
	v_addc_co_u32_e32 v5, vcc, -1, v13, vcc
	v_add_co_u32_e32 v2, vcc, s84, v12
	flat_store_byte v[4:5], v3 nt
	s_nop 0
	v_addc_co_u32_e32 v3, vcc, -1, v13, vcc
	flat_store_byte v[2:3], v54 nt
	v_add_co_u32_e32 v2, vcc, s85, v12
	v_accvgpr_read_b32 v4, a42
	s_nop 0
	v_addc_co_u32_e32 v3, vcc, -1, v13, vcc
	flat_store_byte v[2:3], v29 nt
	v_add_co_u32_e32 v2, vcc, s86, v12
	v_accvgpr_read_b32 v5, a43
	s_nop 0
	v_addc_co_u32_e32 v3, vcc, -1, v13, vcc
	flat_store_byte v[2:3], v50 nt
	v_add_co_u32_e32 v2, vcc, s87, v12
	v_lshl_add_u64 v[0:1], v[0:1], 0, v[4:5]
	s_nop 0
	v_addc_co_u32_e32 v3, vcc, -1, v13, vcc
	flat_store_byte v[2:3], v49 nt
	v_add_co_u32_e32 v2, vcc, s88, v12
	v_lshl_add_u64 v[10:11], v[10:11], 0, v[4:5]
	s_nop 0
	v_addc_co_u32_e32 v3, vcc, -1, v13, vcc
	flat_store_byte v[2:3], v28 nt
	v_add_co_u32_e32 v2, vcc, s89, v12
	s_nop 1
	v_addc_co_u32_e32 v3, vcc, -1, v13, vcc
	flat_store_byte v[2:3], v27 nt
	v_add_co_u32_e32 v2, vcc, s90, v12
	;; [unrolled: 4-line block ×9, first 2 shown]
	s_nop 1
	v_addc_co_u32_e32 v3, vcc, -1, v13, vcc
	v_cmp_gt_i32_e32 vcc, 1, v32
	flat_store_byte v[2:3], v23 nt
	flat_store_byte v[12:13], v22 nt
	v_lshl_add_u64 v[12:13], v[12:13], 0, v[4:5]
	s_or_b64 s[42:43], vcc, s[42:43]
	s_andn2_b64 exec, exec, s[42:43]
	s_cbranch_execnz .LBB6_136
; %bb.137:                              ;   in Loop: Header=BB6_49 Depth=1
	s_or_b64 exec, exec, s[42:43]
	v_accvgpr_read_b32 v21, a7
	v_accvgpr_read_b32 v25, a9
	;; [unrolled: 1-line block ×34, first 2 shown]
	v_mov_b32_e32 v40, 1
	v_accvgpr_read_b32 v42, a48
	v_accvgpr_read_b32 v44, a50
	v_accvgpr_read_b32 v41, a41
	v_accvgpr_read_b32 v10, a49
	v_accvgpr_read_b32 v5, a51
	v_accvgpr_read_b32 v2, a52
	v_accvgpr_read_b32 v1, a53
	v_accvgpr_read_b32 v3, a54
.LBB6_138:                              ;   in Loop: Header=BB6_49 Depth=1
	s_or_b64 exec, exec, s[40:41]
	v_lshlrev_b32_e32 v0, 11, v3
	v_cmp_ne_u32_e32 vcc, v5, v0
	s_and_b64 exec, exec, vcc
	s_cbranch_execz .LBB6_142
; %bb.139:                              ;   in Loop: Header=BB6_49 Depth=1
	v_add_u32_e32 v1, v2, v1
	v_and_b32_e32 v1, 0xffffffc0, v1
	v_sub_u32_e32 v1, v2, v1
	v_lshlrev_b32_e32 v2, 6, v32
	v_sub_u32_e32 v1, v1, v2
	v_add_u32_e32 v0, v0, v1
	v_sub_u32_e32 v2, v5, v0
	v_cmp_lt_i32_e32 vcc, 0, v2
	s_and_b64 exec, exec, vcc
	s_cbranch_execz .LBB6_142
; %bb.140:                              ;   in Loop: Header=BB6_49 Depth=1
	s_trap 2
	ds_read_b128 v[4:7], v0
	ds_read_b64 v[8:9], v0
	v_add_u32_e32 v12, v0, v10
	v_ashrrev_i32_e32 v13, 31, v12
	s_mov_b64 s[40:41], 0
	s_waitcnt lgkmcnt(0)
	v_lshl_add_u64 v[0:1], v[4:5], 0, v[12:13]
	v_lshl_add_u64 v[10:11], v[6:7], 0, v[12:13]
	;; [unrolled: 1-line block ×3, first 2 shown]
.LBB6_141:                              ;   Parent Loop BB6_49 Depth=1
                                        ; =>  This Inner Loop Header: Depth=2
	s_trap 2
	flat_load_ubyte v3, v[0:1] nt
	flat_load_ubyte v4, v[10:11] nt
	ds_read_b32 v5, v0
	v_mov_b32_e32 v6, 0
	v_sub_u32_e32 v2, v2, v50
	v_lshl_add_u64 v[0:1], v[0:1], 0, v[50:51]
	v_lshl_add_u64 v[10:11], v[10:11], 0, v[50:51]
	s_waitcnt lgkmcnt(0)
	v_and_b32_e32 v5, 0xff, v5
	v_cvt_f32_bf8_sdwa v5, v5 src0_sel:BYTE_0
	s_waitcnt vmcnt(0)
	v_cvt_f32_bf8_sdwa v3, v3 src0_sel:BYTE_0
	s_nop 0
	v_mul_f32_e32 v3, v5, v3
	v_med3_f32 v5, v3, s66, v47
	v_cmp_nlg_f32_e64 vcc, |v3|, s65
	s_nop 1
	v_cndmask_b32_e32 v3, v5, v3, vcc
	v_cvt_pk_bf8_f32 v6, v3, v3
	v_cvt_pk_f32_bf8_e32 v[4:5], v4
	v_cmp_gt_i32_e32 vcc, 1, v2
	s_or_b64 s[40:41], vcc, s[40:41]
	v_and_b32_e32 v3, 0xff, v6
	v_cvt_pk_f32_bf8_e32 v[6:7], v3
	v_mov_b32_e32 v3, 0
	;;#ASMSTART
	v_pk_add_f32 v[4:5], v[6:7], v[4:5]
	;;#ASMEND
	s_nop 0
	v_cvt_pk_bf8_f32 v3, v4, v4
	v_mov_b32_e32 v4, 0
	v_cvt_f32_i32_e32 v3, v3
	v_med3_f32 v3, v3, s66, v47
	v_cvt_pk_bf8_f32 v4, v3, v3
	flat_store_byte v[12:13], v4 nt
	v_lshl_add_u64 v[12:13], v[12:13], 0, v[50:51]
	s_andn2_b64 exec, exec, s[40:41]
	s_cbranch_execnz .LBB6_141
.LBB6_142:                              ;   in Loop: Header=BB6_49 Depth=1
	s_or_b64 exec, exec, s[18:19]
	v_cmp_ne_u32_e64 s[18:19], 0, v41
.LBB6_143:                              ;   in Loop: Header=BB6_49 Depth=1
	s_and_saveexec_b64 s[40:41], s[6:7]
	s_cbranch_execz .LBB6_162
; %bb.144:                              ;   in Loop: Header=BB6_49 Depth=1
	s_and_saveexec_b64 vcc, s[26:27]
	s_xor_b64 s[42:43], exec, vcc
	s_cbranch_execz .LBB6_159
; %bb.145:                              ;   in Loop: Header=BB6_49 Depth=1
	s_and_saveexec_b64 s[46:47], s[10:11]
	s_cbranch_execz .LBB6_158
; %bb.146:                              ;   in Loop: Header=BB6_49 Depth=1
	s_mov_b64 s[50:51], exec
	v_mbcnt_lo_u32_b32 v0, s50, 0
	v_mbcnt_hi_u32_b32 v0, s51, v0
	v_cmp_eq_u32_e32 vcc, 0, v0
	s_waitcnt lgkmcnt(0)
	s_and_saveexec_b64 s[48:49], vcc
	s_cbranch_execz .LBB6_148
; %bb.147:                              ;   in Loop: Header=BB6_49 Depth=1
	s_bcnt1_i32_b64 vcc_lo, s[50:51]
	v_mov_b32_e32 v32, vcc_lo
	ds_add_u64 v0, v[32:33]
	s_trap 2
.LBB6_148:                              ;   in Loop: Header=BB6_49 Depth=1
	s_or_b64 exec, exec, s[48:49]
	s_trap 2
	ds_read_b64 v[0:1], v0
	v_lshl_add_u64 v[14:15], v[14:15], 0, v[52:53]
	s_waitcnt lgkmcnt(0)
	v_cmp_lt_u64_e32 vcc, v[0:1], v[14:15]
	s_and_saveexec_b64 s[48:49], vcc
	s_cbranch_execz .LBB6_157
; %bb.149:                              ;   in Loop: Header=BB6_49 Depth=1
	s_mov_b32 s94, 0
	s_mov_b64 s[50:51], 0
                                        ; implicit-def: $sgpr52_sgpr53
                                        ; implicit-def: $sgpr54_sgpr55
	s_branch .LBB6_151
.LBB6_150:                              ;   in Loop: Header=BB6_151 Depth=2
	s_or_b64 exec, exec, s[58:59]
	s_and_b64 vcc, exec, vcc
	s_or_b64 s[50:51], vcc, s[50:51]
	s_andn2_b64 vcc, s[52:53], exec
	s_and_b64 s[52:53], s[54:55], exec
	s_or_b64 s[52:53], vcc, s[52:53]
	s_andn2_b64 exec, exec, s[50:51]
	s_cbranch_execz .LBB6_155
.LBB6_151:                              ;   Parent Loop BB6_49 Depth=1
                                        ; =>  This Inner Loop Header: Depth=2
	s_add_i32 s94, s94, 1
	s_cmpk_lg_i32 s94, 0x2710
	s_cselect_b64 s[56:57], -1, 0
	s_and_b64 vcc, exec, s[56:57]
                                        ; implicit-def: $sgpr58_sgpr59
	s_cbranch_vccnz .LBB6_153
; %bb.152:                              ;   in Loop: Header=BB6_151 Depth=2
	s_trap 2
	ds_read_b64 v[0:1], v0
	s_andn2_b64 s[56:57], s[56:57], exec
	s_mov_b32 s94, 0
	s_mov_b64 s[58:59], -1
	s_waitcnt vmcnt(0) lgkmcnt(0)
	flat_load_dword v0, v[0:1] sc0 sc1
	s_waitcnt vmcnt(0) lgkmcnt(0)
	buffer_inv sc0 sc1
	v_cmp_eq_u32_e32 vcc, 0, v0
	s_and_b64 vcc, vcc, exec
	s_or_b64 s[56:57], s[56:57], vcc
.LBB6_153:                              ;   in Loop: Header=BB6_151 Depth=2
	s_andn2_b64 s[54:55], s[54:55], exec
	s_and_b64 s[58:59], s[58:59], exec
	s_mov_b64 vcc, -1
	s_or_b64 s[54:55], s[54:55], s[58:59]
	s_and_saveexec_b64 s[58:59], s[56:57]
	s_cbranch_execz .LBB6_150
; %bb.154:                              ;   in Loop: Header=BB6_151 Depth=2
	s_sleep 1
	s_trap 2
	ds_read_b64 v[0:1], v0
	s_andn2_b64 s[54:55], s[54:55], exec
	s_waitcnt lgkmcnt(0)
	v_cmp_ge_u64_e32 vcc, v[0:1], v[14:15]
	s_orn2_b64 vcc, vcc, exec
	s_branch .LBB6_150
.LBB6_155:                              ;   in Loop: Header=BB6_49 Depth=1
	s_or_b64 exec, exec, s[50:51]
	s_and_saveexec_b64 vcc, s[52:53]
	s_xor_b64 vcc, exec, vcc
	s_cbranch_execz .LBB6_157
; %bb.156:                              ;   in Loop: Header=BB6_49 Depth=1
	ds_write_b32 v0, v40
	s_trap 2
.LBB6_157:                              ;   in Loop: Header=BB6_49 Depth=1
	s_or_b64 exec, exec, s[48:49]
	;;#ASMSTART
	s_wakeup
	;;#ASMEND
.LBB6_158:                              ;   in Loop: Header=BB6_49 Depth=1
	s_or_b64 exec, exec, s[46:47]
.LBB6_159:                              ;   in Loop: Header=BB6_49 Depth=1
	s_andn2_saveexec_b64 vcc, s[42:43]
	s_cbranch_execz .LBB6_161
; %bb.160:                              ;   in Loop: Header=BB6_49 Depth=1
	s_waitcnt lgkmcnt(0)
	s_barrier
.LBB6_161:                              ;   in Loop: Header=BB6_49 Depth=1
	s_or_b64 exec, exec, vcc
.LBB6_162:                              ;   in Loop: Header=BB6_49 Depth=1
	s_or_b64 exec, exec, s[40:41]
	v_and_b32_e32 v0, 16, v56
	v_cmp_ne_u32_e32 vcc, 0, v0
	s_and_b64 vcc, vcc, s[18:19]
	s_and_saveexec_b64 s[18:19], vcc
	s_cbranch_execz .LBB6_164
; %bb.163:                              ;   in Loop: Header=BB6_49 Depth=1
	buffer_wbl2 sc1
	s_waitcnt vmcnt(0) lgkmcnt(0)
	buffer_inv sc1
.LBB6_164:                              ;   in Loop: Header=BB6_49 Depth=1
	s_or_b64 exec, exec, s[18:19]
	v_cmp_ne_u32_e32 vcc, 0, v0
	s_xor_b64 s[18:19], s[16:17], -1
	s_and_b64 vcc, vcc, s[18:19]
	s_and_saveexec_b64 s[18:19], vcc
	s_cbranch_execz .LBB6_166
; %bb.165:                              ;   in Loop: Header=BB6_49 Depth=1
	flat_store_dword v[48:49], v40 sc0 sc1
.LBB6_166:                              ;   in Loop: Header=BB6_49 Depth=1
	s_or_b64 exec, exec, s[18:19]
	v_and_b32_e32 v0, 48, v56
	v_cmp_ne_u32_e32 vcc, 0, v0
	s_and_saveexec_b64 s[18:19], vcc
	s_cbranch_execz .LBB6_168
; %bb.167:                              ;   in Loop: Header=BB6_49 Depth=1
	v_lshl_add_u64 v[28:29], v[28:29], 0, 1
	flat_store_dwordx2 v[30:31], v[28:29] sc0 sc1
.LBB6_168:                              ;   in Loop: Header=BB6_49 Depth=1
	s_or_b64 exec, exec, s[18:19]
	v_mov_b32_e32 v2, v44
.LBB6_169:                              ;   in Loop: Header=BB6_49 Depth=1
	s_or_b64 exec, exec, s[38:39]
	s_and_saveexec_b64 s[38:39], s[36:37]
	s_cbranch_execz .LBB6_48
; %bb.170:                              ;   in Loop: Header=BB6_49 Depth=1
	v_and_b32_e32 v0, 12, v56
	v_cmp_ne_u32_e32 vcc, 0, v0
	s_mov_b64 s[36:37], -1
	v_lshl_add_u64 v[10:11], v[28:29], 0, 1
	s_and_saveexec_b64 s[18:19], vcc
	s_cbranch_execz .LBB6_182
; %bb.171:                              ;   in Loop: Header=BB6_49 Depth=1
	v_and_b32_e32 v32, 8, v56
	v_lshl_add_u64 v[4:5], v[38:39], 0, v[32:33]
	v_lshl_add_u64 v[0:1], v[28:29], 0, 1
	v_cmp_lt_u64_e32 vcc, v[4:5], v[0:1]
	v_mov_b32_e32 v3, 1
	s_and_saveexec_b64 s[36:37], vcc
	s_cbranch_execz .LBB6_181
; %bb.172:                              ;   in Loop: Header=BB6_49 Depth=1
	s_mov_b64 s[40:41], 0
	v_mov_b32_e32 v3, 0
                                        ; implicit-def: $sgpr42_sgpr43
	s_branch .LBB6_176
.LBB6_173:                              ;   in Loop: Header=BB6_176 Depth=2
	s_or_b64 exec, exec, s[52:53]
	v_mov_b32_e32 v4, 0
	s_orn2_b64 s[50:51], s[50:51], exec
.LBB6_174:                              ;   in Loop: Header=BB6_176 Depth=2
	s_or_b64 exec, exec, s[48:49]
	s_andn2_b64 vcc, s[42:43], exec
	s_and_b64 s[42:43], s[50:51], exec
	s_or_b64 s[42:43], vcc, s[42:43]
	v_mov_b32_e32 v3, v4
.LBB6_175:                              ;   in Loop: Header=BB6_176 Depth=2
	s_or_b64 exec, exec, s[46:47]
	s_waitcnt vmcnt(0) lgkmcnt(0)
	v_lshl_add_u64 v[4:5], v[38:39], 0, v[32:33]
	v_cmp_ge_u64_e32 vcc, v[4:5], v[0:1]
	s_xor_b64 s[46:47], s[42:43], -1
	s_or_b64 vcc, s[46:47], vcc
	s_and_b64 vcc, exec, vcc
	s_or_b64 s[40:41], vcc, s[40:41]
	s_andn2_b64 exec, exec, s[40:41]
	s_cbranch_execz .LBB6_180
.LBB6_176:                              ;   Parent Loop BB6_49 Depth=1
                                        ; =>  This Inner Loop Header: Depth=2
	s_sleep 1
	flat_load_dwordx2 v[38:39], v[30:31] sc0 sc1
	v_and_b32_e32 v4, 64, v56
	v_cmp_eq_u32_e32 vcc, 0, v4
	s_andn2_b64 s[42:43], s[42:43], exec
	s_and_saveexec_b64 s[46:47], vcc
	s_cbranch_execz .LBB6_175
; %bb.177:                              ;   in Loop: Header=BB6_176 Depth=2
	v_add_u32_e32 v4, 1, v3
	v_cmp_lt_i32_e32 vcc, s63, v3
	s_mov_b64 s[50:51], -1
	s_and_saveexec_b64 s[48:49], vcc
	s_cbranch_execz .LBB6_174
; %bb.178:                              ;   in Loop: Header=BB6_176 Depth=2
	s_trap 2
	ds_read_b64 v[4:5], v0
	s_waitcnt vmcnt(0) lgkmcnt(0)
	flat_load_dword v3, v[4:5] sc0 sc1
	s_waitcnt vmcnt(0) lgkmcnt(0)
	buffer_inv sc0 sc1
	v_cmp_ne_u32_e32 vcc, 0, v3
	s_and_saveexec_b64 s[52:53], vcc
	s_cbranch_execz .LBB6_173
; %bb.179:                              ;   in Loop: Header=BB6_176 Depth=2
	v_or_b32_e32 v56, 64, v56
	s_xor_b64 s[50:51], exec, -1
	ds_write_b32 v0, v3
	s_trap 2
	s_branch .LBB6_173
.LBB6_180:                              ;   in Loop: Header=BB6_49 Depth=1
	s_or_b64 exec, exec, s[40:41]
	v_and_b32_e32 v3, 12, v56
.LBB6_181:                              ;   in Loop: Header=BB6_49 Depth=1
	s_or_b64 exec, exec, s[36:37]
	v_cmp_eq_u32_e32 vcc, 0, v3
	s_orn2_b64 s[36:37], vcc, exec
	;;#ASMSTART
	s_wakeup
	;;#ASMEND
.LBB6_182:                              ;   in Loop: Header=BB6_49 Depth=1
	s_or_b64 exec, exec, s[18:19]
	v_sub_u32_e32 v0, v42, v2
	s_xor_b64 s[18:19], s[36:37], -1
	v_min_i32_e32 v0, v44, v0
	s_and_saveexec_b64 s[36:37], s[18:19]
	s_cbranch_execz .LBB6_194
; %bb.183:                              ;   in Loop: Header=BB6_49 Depth=1
	v_and_b32_e32 v1, 0x108, v56
	v_cmp_ne_u32_e32 vcc, s64, v1
	v_and_b32_e32 v2, 7, v28
	s_and_saveexec_b64 s[18:19], vcc
	s_xor_b64 s[18:19], exec, s[18:19]
	s_andn2_saveexec_b64 s[18:19], s[18:19]
	s_cbranch_execz .LBB6_185
; %bb.184:                              ;   in Loop: Header=BB6_49 Depth=1
	v_mad_u64_u32 v[4:5], vcc, v2, 24, v[26:27]
	v_ashrrev_i32_e32 v1, 31, v0
	flat_store_dwordx2 v[4:5], v[0:1] offset:8
.LBB6_185:                              ;   in Loop: Header=BB6_49 Depth=1
	s_or_b64 exec, exec, s[18:19]
	v_and_b32_e32 v1, 0x100, v56
	v_cmp_ne_u32_e32 vcc, 0, v1
	s_mov_b64 s[18:19], -1
                                        ; implicit-def: $vgpr8_vgpr9
	s_and_saveexec_b64 s[40:41], vcc
	s_cbranch_execz .LBB6_189
; %bb.186:                              ;   in Loop: Header=BB6_49 Depth=1
	v_mad_u64_u32 v[12:13], s[18:19], v2, 24, v[26:27]
	v_mov_b32_e32 v4, v13
	v_mad_u64_u32 v[4:5], s[18:19], v33, 24, v[4:5]
	v_mov_b32_e32 v13, v4
	flat_load_dword v1, v[12:13]
                                        ; implicit-def: $vgpr8_vgpr9
	s_waitcnt vmcnt(0) lgkmcnt(0)
	v_cmp_ne_u32_e32 vcc, 1, v1
	v_cmp_eq_u32_e64 s[18:19], 1, v1
	s_and_saveexec_b64 s[42:43], s[18:19]
	s_cbranch_execz .LBB6_188
; %bb.187:                              ;   in Loop: Header=BB6_49 Depth=1
	flat_load_dword v8, v[12:13] offset:4 sc0 sc1
	s_waitcnt vmcnt(0) lgkmcnt(0)
	v_ashrrev_i32_e32 v9, 31, v8
.LBB6_188:                              ;   in Loop: Header=BB6_49 Depth=1
	s_or_b64 exec, exec, s[42:43]
	s_orn2_b64 s[18:19], vcc, exec
.LBB6_189:                              ;   in Loop: Header=BB6_49 Depth=1
	s_or_b64 exec, exec, s[40:41]
	s_and_saveexec_b64 vcc, s[18:19]
; %bb.190:                              ;   in Loop: Header=BB6_49 Depth=1
	v_mul_lo_u32 v1, v33, v34
	v_mul_lo_u32 v3, v2, v19
	v_mad_u64_u32 v[8:9], s[18:19], v2, v34, 0
	v_add3_u32 v9, v9, v3, v1
; %bb.191:                              ;   in Loop: Header=BB6_49 Depth=1
	s_or_b64 exec, exec, vcc
	v_and_b32_e32 v1, 0x2000, v56
	v_lshl_add_u64 v[2:3], v[36:37], 0, v[8:9]
	v_cmp_ne_u32_e32 vcc, 0, v1
	s_trap 2
	ds_write_b64 v0, v[2:3]
	s_and_saveexec_b64 s[18:19], vcc
	s_cbranch_execz .LBB6_193
; %bb.192:                              ;   in Loop: Header=BB6_49 Depth=1
	ds_read_b64 v[2:3], v0 offset:584
	s_waitcnt lgkmcnt(0)
	v_lshl_add_u64 v[2:3], v[2:3], 0, 1
	ds_write_b64 v0, v[2:3] offset:584
.LBB6_193:                              ;   in Loop: Header=BB6_49 Depth=1
	s_or_b64 exec, exec, s[18:19]
	v_mov_b64_e32 v[28:29], v[10:11]
.LBB6_194:                              ;   in Loop: Header=BB6_49 Depth=1
	s_or_b64 exec, exec, s[36:37]
	s_and_saveexec_b64 s[18:19], s[6:7]
	s_cbranch_execz .LBB6_213
; %bb.195:                              ;   in Loop: Header=BB6_49 Depth=1
	s_and_saveexec_b64 vcc, s[26:27]
	s_xor_b64 s[36:37], exec, vcc
	s_cbranch_execz .LBB6_210
; %bb.196:                              ;   in Loop: Header=BB6_49 Depth=1
	s_and_saveexec_b64 s[40:41], s[10:11]
	s_cbranch_execz .LBB6_209
; %bb.197:                              ;   in Loop: Header=BB6_49 Depth=1
	s_mov_b64 s[46:47], exec
	v_mbcnt_lo_u32_b32 v1, s46, 0
	v_mbcnt_hi_u32_b32 v1, s47, v1
	v_cmp_eq_u32_e32 vcc, 0, v1
	s_waitcnt lgkmcnt(0)
	s_and_saveexec_b64 s[42:43], vcc
	s_cbranch_execz .LBB6_199
; %bb.198:                              ;   in Loop: Header=BB6_49 Depth=1
	s_bcnt1_i32_b64 vcc_lo, s[46:47]
	v_mov_b32_e32 v32, vcc_lo
	ds_add_u64 v0, v[32:33]
	s_trap 2
.LBB6_199:                              ;   in Loop: Header=BB6_49 Depth=1
	s_or_b64 exec, exec, s[42:43]
	s_trap 2
	ds_read_b64 v[2:3], v0
	v_lshl_add_u64 v[14:15], v[14:15], 0, v[52:53]
	s_waitcnt lgkmcnt(0)
	v_cmp_lt_u64_e32 vcc, v[2:3], v[14:15]
	s_and_saveexec_b64 s[42:43], vcc
	s_cbranch_execz .LBB6_208
; %bb.200:                              ;   in Loop: Header=BB6_49 Depth=1
	s_mov_b32 s56, 0
	s_mov_b64 s[46:47], 0
                                        ; implicit-def: $sgpr48_sgpr49
                                        ; implicit-def: $sgpr50_sgpr51
	s_branch .LBB6_202
.LBB6_201:                              ;   in Loop: Header=BB6_202 Depth=2
	s_or_b64 exec, exec, s[54:55]
	s_and_b64 vcc, exec, vcc
	s_or_b64 s[46:47], vcc, s[46:47]
	s_andn2_b64 vcc, s[48:49], exec
	s_and_b64 s[48:49], s[50:51], exec
	s_or_b64 s[48:49], vcc, s[48:49]
	s_andn2_b64 exec, exec, s[46:47]
	s_cbranch_execz .LBB6_206
.LBB6_202:                              ;   Parent Loop BB6_49 Depth=1
                                        ; =>  This Inner Loop Header: Depth=2
	s_add_i32 s56, s56, 1
	s_cmpk_lg_i32 s56, 0x2710
	s_cselect_b64 s[52:53], -1, 0
	s_and_b64 vcc, exec, s[52:53]
                                        ; implicit-def: $sgpr54_sgpr55
	s_cbranch_vccnz .LBB6_204
; %bb.203:                              ;   in Loop: Header=BB6_202 Depth=2
	s_trap 2
	ds_read_b64 v[2:3], v0
	s_andn2_b64 s[52:53], s[52:53], exec
	s_mov_b32 s56, 0
	s_mov_b64 s[54:55], -1
	s_waitcnt vmcnt(0) lgkmcnt(0)
	flat_load_dword v1, v[2:3] sc0 sc1
	s_waitcnt vmcnt(0) lgkmcnt(0)
	buffer_inv sc0 sc1
	v_cmp_eq_u32_e32 vcc, 0, v1
	s_and_b64 vcc, vcc, exec
	s_or_b64 s[52:53], s[52:53], vcc
.LBB6_204:                              ;   in Loop: Header=BB6_202 Depth=2
	s_andn2_b64 s[50:51], s[50:51], exec
	s_and_b64 s[54:55], s[54:55], exec
	s_mov_b64 vcc, -1
	s_or_b64 s[50:51], s[50:51], s[54:55]
	s_and_saveexec_b64 s[54:55], s[52:53]
	s_cbranch_execz .LBB6_201
; %bb.205:                              ;   in Loop: Header=BB6_202 Depth=2
	s_sleep 1
	s_trap 2
	ds_read_b64 v[2:3], v0
	s_andn2_b64 s[50:51], s[50:51], exec
	s_waitcnt lgkmcnt(0)
	v_cmp_ge_u64_e32 vcc, v[2:3], v[14:15]
	s_orn2_b64 vcc, vcc, exec
	s_branch .LBB6_201
.LBB6_206:                              ;   in Loop: Header=BB6_49 Depth=1
	s_or_b64 exec, exec, s[46:47]
	s_and_saveexec_b64 vcc, s[48:49]
	s_xor_b64 vcc, exec, vcc
	s_cbranch_execz .LBB6_208
; %bb.207:                              ;   in Loop: Header=BB6_49 Depth=1
	ds_write_b32 v0, v40
	s_trap 2
.LBB6_208:                              ;   in Loop: Header=BB6_49 Depth=1
	s_or_b64 exec, exec, s[42:43]
	;;#ASMSTART
	s_wakeup
	;;#ASMEND
.LBB6_209:                              ;   in Loop: Header=BB6_49 Depth=1
	s_or_b64 exec, exec, s[40:41]
.LBB6_210:                              ;   in Loop: Header=BB6_49 Depth=1
	s_andn2_saveexec_b64 vcc, s[36:37]
	s_cbranch_execz .LBB6_212
; %bb.211:                              ;   in Loop: Header=BB6_49 Depth=1
	s_waitcnt lgkmcnt(0)
	s_barrier
.LBB6_212:                              ;   in Loop: Header=BB6_49 Depth=1
	s_or_b64 exec, exec, vcc
.LBB6_213:                              ;   in Loop: Header=BB6_49 Depth=1
	s_or_b64 exec, exec, s[18:19]
	s_trap 2
	ds_read_b32 v1, v0
	v_cmp_lt_i32_e32 vcc, 0, v0
	v_and_b32_e32 v0, 16, v56
	s_waitcnt lgkmcnt(0)
	v_readfirstlane_b32 s18, v1
	s_cmp_eq_u32 s18, 0
	s_cselect_b64 s[18:19], -1, 0
	s_and_b64 s[18:19], vcc, s[18:19]
	v_cmp_ne_u32_e32 vcc, 0, v0
	s_and_b64 vcc, vcc, s[18:19]
	s_and_saveexec_b64 s[18:19], vcc
	s_cbranch_execz .LBB6_215
; %bb.214:                              ;   in Loop: Header=BB6_49 Depth=1
	buffer_wbl2 sc1
	s_waitcnt vmcnt(0)
	buffer_inv sc1
.LBB6_215:                              ;   in Loop: Header=BB6_49 Depth=1
	s_or_b64 exec, exec, s[18:19]
	v_cmp_ne_u32_e32 vcc, 0, v0
	s_xor_b64 s[18:19], s[16:17], -1
	s_and_b64 vcc, vcc, s[18:19]
	s_and_saveexec_b64 s[18:19], vcc
	s_cbranch_execz .LBB6_217
; %bb.216:                              ;   in Loop: Header=BB6_49 Depth=1
	flat_store_dword v[48:49], v40 sc0 sc1
.LBB6_217:                              ;   in Loop: Header=BB6_49 Depth=1
	s_or_b64 exec, exec, s[18:19]
	v_and_b32_e32 v0, 48, v56
	v_cmp_ne_u32_e32 vcc, 0, v0
	s_and_saveexec_b64 s[18:19], vcc
	s_cbranch_execz .LBB6_47
; %bb.218:                              ;   in Loop: Header=BB6_49 Depth=1
	v_lshl_add_u64 v[28:29], v[28:29], 0, 1
	flat_store_dwordx2 v[30:31], v[28:29] sc0 sc1
	s_branch .LBB6_47
.LBB6_219:
	s_or_b64 exec, exec, s[28:29]
.LBB6_220:
	s_or_b64 exec, exec, s[24:25]
                                        ; implicit-def: $vgpr24_vgpr25
                                        ; implicit-def: $vgpr20_vgpr21
                                        ; implicit-def: $vgpr34
                                        ; implicit-def: $vgpr38_vgpr39
                                        ; implicit-def: $vgpr36_vgpr37
                                        ; implicit-def: $vgpr30_vgpr31
                                        ; implicit-def: $vgpr61
                                        ; implicit-def: $vgpr1
                                        ; implicit-def: $vgpr16_vgpr17
.LBB6_221:
	s_andn2_saveexec_b64 s[16:17], s[22:23]
	s_cbranch_execz .LBB6_390
; %bb.222:
	v_mov_b64_e32 v[14:15], 0
	s_and_saveexec_b64 s[18:19], s[2:3]
	s_cbranch_execz .LBB6_389
; %bb.223:
	s_trap 2
	scratch_load_dword v0, off, s33 offset:196 ; 4-byte Folded Reload
	v_lshrrev_b32_e32 v18, 6, v57
	s_mov_b64 s[14:15], 0x1000
	s_waitcnt vmcnt(0) lgkmcnt(0)
	v_lshlrev_b32_e32 v49, 10, v18
	s_ashr_i32 s2, s60, 31
	v_mov_b32_e32 v33, 0
	s_lshr_b32 s2, s2, 24
	v_mov_b32_e32 v19, v33
	v_and_b32_e32 v50, 0xffffffc0, v57
	s_add_i32 s2, s60, s2
	v_cmp_eq_u32_e32 vcc, 64, v57
	v_ashrrev_i32_e32 v51, 31, v50
	v_mov_b64_e32 v[52:53], 0
	v_accvgpr_write_b32 a6, v20
	v_accvgpr_write_b32 a8, v24
	;; [unrolled: 1-line block ×7, first 2 shown]
	s_ashr_i32 s56, s2, 8
	v_cmp_ge_i32_e64 s[2:3], v61, v57
	v_cmp_ne_u32_e64 s[4:5], 64, v57
	s_movk_i32 s57, 0xfc00
	s_mov_b64 s[24:25], 0
	s_movk_i32 s58, 0x270e
	s_xor_b64 s[26:27], vcc, -1
	s_mov_b32 s59, 0x7f800000
	s_mov_b32 s61, 0x47600000
	;; [unrolled: 1-line block ×3, first 2 shown]
	s_mov_b64 s[28:29], 0x7c0
	s_movk_i32 s63, 0xf840
	s_movk_i32 s64, 0xf880
	;; [unrolled: 1-line block ×26, first 2 shown]
	v_mov_b32_e32 v60, 0xc7600000
	v_mov_b64_e32 v[14:15], v[52:53]
	v_accvgpr_write_b32 a7, v21
	v_accvgpr_write_b32 a9, v25
	;; [unrolled: 1-line block ×9, first 2 shown]
	v_cmp_ne_u32_sdwa s[22:23], v0, v57 src0_sel:WORD_0 src1_sel:DWORD
	v_accvgpr_read_b32 v0, a1
	v_and_b32_e32 v0, 63, v0
	v_cmp_eq_u32_e64 s[6:7], 0, v0
	v_ashrrev_i32_e32 v0, 31, v61
	v_lshrrev_b32_e32 v0, 26, v0
	v_add_u32_e32 v0, v61, v0
	v_ashrrev_i32_e32 v35, 6, v0
	v_and_b32_e32 v0, 0xffffffc0, v0
	v_sub_u32_e32 v2, v61, v0
	v_lshlrev_b32_e32 v0, 12, v35
	v_lshl_add_u32 v0, v2, 4, v0
	v_cmp_le_i32_e64 s[10:11], v2, v1
	v_ashrrev_i32_e32 v1, 31, v0
	v_accvgpr_write_b32 a35, v1
	v_accvgpr_write_b32 a34, v0
	v_mov_b32_e32 v0, 0xfffff000
	v_lshl_add_u32 v0, v18, 12, v0
	v_ashrrev_i32_e32 v1, 31, v0
	v_cmp_gt_i32_e64 s[12:13], 1, v2
	v_accvgpr_write_b32 a32, v2
	v_lshl_add_u64 v[2:3], v[0:1], 0, s[14:15]
	v_add_u32_e32 v0, 0xfffffc00, v49
	v_ashrrev_i32_e32 v1, 31, v0
	s_mov_b64 s[14:15], 0x400
	v_lshl_add_u64 v[0:1], v[0:1], 0, s[14:15]
	scratch_store_dwordx2 off, v[0:1], s33 offset:188 ; 8-byte Folded Spill
	v_mov_b32_e32 v0, 0xfffff800
	v_lshl_add_u32 v0, v18, 11, v0
	v_ashrrev_i32_e32 v1, 31, v0
	s_mov_b64 s[14:15], 0x800
	v_lshl_add_u64 v[0:1], v[0:1], 0, s[14:15]
	v_accvgpr_write_b32 a37, v3
	v_accvgpr_write_b32 a39, v1
	;; [unrolled: 1-line block ×5, first 2 shown]
	s_branch .LBB6_226
.LBB6_224:                              ;   in Loop: Header=BB6_226 Depth=1
	s_or_b64 exec, exec, s[14:15]
.LBB6_225:                              ;   in Loop: Header=BB6_226 Depth=1
	s_or_b64 exec, exec, s[34:35]
	v_lshl_add_u64 v[52:53], v[52:53], 0, v[16:17]
	v_cmp_ge_u64_e32 vcc, v[52:53], v[20:21]
	s_or_b64 s[24:25], vcc, s[24:25]
	s_andn2_b64 exec, exec, s[24:25]
	s_cbranch_execz .LBB6_388
.LBB6_226:                              ; =>This Loop Header: Depth=1
                                        ;     Child Loop BB6_237 Depth 2
                                        ;     Child Loop BB6_259 Depth 2
	;; [unrolled: 1-line block ×10, first 2 shown]
	v_sub_co_u32_e32 v0, vcc, v20, v52
	v_mov_b32_e32 v4, 0
	s_nop 0
	v_subb_co_u32_e32 v1, vcc, v21, v53, vcc
	v_cmp_lt_u64_e32 vcc, v[16:17], v[0:1]
	s_nop 1
	v_cndmask_b32_e64 v55, v1, 0, vcc
	v_cndmask_b32_e32 v54, v0, v16, vcc
	v_add_u32_e32 v0, 15, v54
	v_cmp_eq_u64_e32 vcc, 0, v[54:55]
	v_and_b32_e32 v0, 0x7ffffff0, v0
	s_or_b64 s[30:31], s[2:3], vcc
	v_max_i32_e32 v40, s56, v0
	s_xor_b64 s[14:15], s[30:31], -1
	s_and_saveexec_b64 s[34:35], s[14:15]
	s_cbranch_execz .LBB6_342
; %bb.227:                              ;   in Loop: Header=BB6_226 Depth=1
	s_and_saveexec_b64 s[14:15], s[0:1]
	s_cbranch_execz .LBB6_229
; %bb.228:                              ;   in Loop: Header=BB6_226 Depth=1
	s_trap 2
	ds_read2_b64 v[0:3], v0 offset1:1
	v_lshl_add_u64 v[4:5], v[52:53], 0, v[24:25]
	s_waitcnt lgkmcnt(0)
	ds_read_b64 v[6:7], v0
	v_lshl_add_u64 v[0:1], v[0:1], 0, v[4:5]
	v_lshl_add_u64 v[2:3], v[2:3], 0, v[4:5]
	ds_write_b64 v0, v[0:1]
	ds_write_b64 v0, v[2:3]
	s_waitcnt lgkmcnt(0)
	v_lshl_add_u64 v[0:1], v[6:7], 0, v[4:5]
	v_cmp_ne_u64_e32 vcc, 0, v[6:7]
	s_nop 1
	v_cndmask_b32_e32 v1, 0, v1, vcc
	v_cndmask_b32_e32 v0, 0, v0, vcc
	ds_write_b64 v0, v[0:1]
.LBB6_229:                              ;   in Loop: Header=BB6_226 Depth=1
	s_or_b64 exec, exec, s[14:15]
	v_and_b32_e32 v0, 4, v56
	v_cmp_ne_u32_e32 vcc, 0, v0
	s_mov_b64 s[36:37], -1
	v_lshl_add_u64 v[0:1], v[28:29], 0, 1
	s_and_saveexec_b64 s[14:15], vcc
	s_cbranch_execnz .LBB6_232
; %bb.230:                              ;   in Loop: Header=BB6_226 Depth=1
	s_or_b64 exec, exec, s[14:15]
	s_xor_b64 s[14:15], s[36:37], -1
	s_and_saveexec_b64 s[36:37], s[14:15]
	s_cbranch_execnz .LBB6_243
.LBB6_231:                              ;   in Loop: Header=BB6_226 Depth=1
	s_or_b64 exec, exec, s[36:37]
	s_and_saveexec_b64 s[14:15], s[4:5]
	s_cbranch_execnz .LBB6_252
	s_branch .LBB6_270
.LBB6_232:                              ;   in Loop: Header=BB6_226 Depth=1
	v_lshl_add_u64 v[2:3], v[28:29], 0, 1
	v_cmp_lt_u64_e32 vcc, v[38:39], v[2:3]
	v_mov_b32_e32 v4, 1
	s_and_saveexec_b64 s[36:37], vcc
	s_cbranch_execz .LBB6_242
; %bb.233:                              ;   in Loop: Header=BB6_226 Depth=1
	s_mov_b64 s[38:39], 0
	v_mov_b32_e32 v4, 0
                                        ; implicit-def: $sgpr40_sgpr41
	s_branch .LBB6_237
.LBB6_234:                              ;   in Loop: Header=BB6_237 Depth=2
	s_or_b64 exec, exec, s[50:51]
	v_mov_b32_e32 v5, 0
	s_orn2_b64 s[48:49], s[48:49], exec
.LBB6_235:                              ;   in Loop: Header=BB6_237 Depth=2
	s_or_b64 exec, exec, s[46:47]
	s_andn2_b64 vcc, s[40:41], exec
	s_and_b64 s[40:41], s[48:49], exec
	s_or_b64 s[40:41], vcc, s[40:41]
	v_mov_b32_e32 v4, v5
.LBB6_236:                              ;   in Loop: Header=BB6_237 Depth=2
	s_or_b64 exec, exec, s[42:43]
	s_waitcnt vmcnt(0) lgkmcnt(0)
	v_cmp_ge_u64_e32 vcc, v[38:39], v[2:3]
	s_xor_b64 s[42:43], s[40:41], -1
	s_or_b64 vcc, s[42:43], vcc
	s_and_b64 vcc, exec, vcc
	s_or_b64 s[38:39], vcc, s[38:39]
	s_andn2_b64 exec, exec, s[38:39]
	s_cbranch_execz .LBB6_241
.LBB6_237:                              ;   Parent Loop BB6_226 Depth=1
                                        ; =>  This Inner Loop Header: Depth=2
	s_sleep 1
	flat_load_dwordx2 v[38:39], v[30:31] sc0 sc1
	v_and_b32_e32 v5, 64, v56
	v_cmp_eq_u32_e32 vcc, 0, v5
	s_andn2_b64 s[40:41], s[40:41], exec
	s_and_saveexec_b64 s[42:43], vcc
	s_cbranch_execz .LBB6_236
; %bb.238:                              ;   in Loop: Header=BB6_237 Depth=2
	v_add_u32_e32 v5, 1, v4
	v_cmp_lt_i32_e32 vcc, s58, v4
	s_mov_b64 s[48:49], -1
	s_and_saveexec_b64 s[46:47], vcc
	s_cbranch_execz .LBB6_235
; %bb.239:                              ;   in Loop: Header=BB6_237 Depth=2
	s_trap 2
	ds_read_b64 v[4:5], v0
	s_waitcnt vmcnt(0) lgkmcnt(0)
	flat_load_dword v4, v[4:5] sc0 sc1
	s_waitcnt vmcnt(0) lgkmcnt(0)
	buffer_inv sc0 sc1
	v_cmp_ne_u32_e32 vcc, 0, v4
	s_and_saveexec_b64 s[50:51], vcc
	s_cbranch_execz .LBB6_234
; %bb.240:                              ;   in Loop: Header=BB6_237 Depth=2
	v_or_b32_e32 v56, 64, v56
	s_xor_b64 s[48:49], exec, -1
	ds_write_b32 v0, v4
	s_trap 2
	s_branch .LBB6_234
.LBB6_241:                              ;   in Loop: Header=BB6_226 Depth=1
	s_or_b64 exec, exec, s[38:39]
	v_and_b32_e32 v4, 4, v56
.LBB6_242:                              ;   in Loop: Header=BB6_226 Depth=1
	s_or_b64 exec, exec, s[36:37]
	v_cmp_eq_u32_e32 vcc, 0, v4
	s_orn2_b64 s[36:37], vcc, exec
	;;#ASMSTART
	s_wakeup
	;;#ASMEND
	s_or_b64 exec, exec, s[14:15]
	s_xor_b64 s[14:15], s[36:37], -1
	s_and_saveexec_b64 s[36:37], s[14:15]
	s_cbranch_execz .LBB6_231
.LBB6_243:                              ;   in Loop: Header=BB6_226 Depth=1
	v_and_b32_e32 v2, 0x100, v56
	v_cmp_ne_u32_e32 vcc, 0, v2
	v_and_b32_e32 v4, 7, v28
	s_mov_b64 s[14:15], -1
                                        ; implicit-def: $vgpr2_vgpr3
	s_and_saveexec_b64 s[38:39], vcc
	s_cbranch_execz .LBB6_247
; %bb.244:                              ;   in Loop: Header=BB6_226 Depth=1
	v_mad_u64_u32 v[8:9], s[14:15], v4, 24, v[26:27]
	flat_load_dword v2, v[8:9]
	s_waitcnt vmcnt(0) lgkmcnt(0)
	v_cmp_ne_u32_e32 vcc, 1, v2
	v_cmp_eq_u32_e64 s[14:15], 1, v2
                                        ; implicit-def: $vgpr2_vgpr3
	s_and_saveexec_b64 s[40:41], s[14:15]
	s_cbranch_execz .LBB6_246
; %bb.245:                              ;   in Loop: Header=BB6_226 Depth=1
	flat_load_dword v2, v[8:9] offset:4 sc0 sc1
	s_waitcnt vmcnt(0) lgkmcnt(0)
	v_ashrrev_i32_e32 v3, 31, v2
.LBB6_246:                              ;   in Loop: Header=BB6_226 Depth=1
	s_or_b64 exec, exec, s[40:41]
	s_orn2_b64 s[14:15], vcc, exec
.LBB6_247:                              ;   in Loop: Header=BB6_226 Depth=1
	s_or_b64 exec, exec, s[38:39]
	s_and_saveexec_b64 vcc, s[14:15]
; %bb.248:                              ;   in Loop: Header=BB6_226 Depth=1
	v_mad_i64_i32 v[2:3], s[14:15], v4, v34, 0
; %bb.249:                              ;   in Loop: Header=BB6_226 Depth=1
	s_or_b64 exec, exec, vcc
	v_lshl_add_u64 v[2:3], v[36:37], 0, v[2:3]
	ds_write_b64 v0, v[2:3] offset:728
	v_and_b32_e32 v2, 0x2000, v56
	v_cmp_ne_u32_e32 vcc, 0, v2
	s_and_saveexec_b64 s[14:15], vcc
	s_cbranch_execz .LBB6_251
; %bb.250:                              ;   in Loop: Header=BB6_226 Depth=1
	ds_read_b64 v[2:3], v0 offset:584
	s_waitcnt lgkmcnt(0)
	v_lshl_add_u64 v[2:3], v[2:3], 0, 1
	ds_write_b64 v0, v[2:3] offset:584
.LBB6_251:                              ;   in Loop: Header=BB6_226 Depth=1
	s_or_b64 exec, exec, s[14:15]
	v_mov_b64_e32 v[28:29], v[0:1]
	s_or_b64 exec, exec, s[36:37]
	s_and_saveexec_b64 s[14:15], s[4:5]
	s_cbranch_execz .LBB6_270
.LBB6_252:                              ;   in Loop: Header=BB6_226 Depth=1
	s_and_saveexec_b64 vcc, s[22:23]
	s_xor_b64 s[36:37], exec, vcc
	s_cbranch_execz .LBB6_267
; %bb.253:                              ;   in Loop: Header=BB6_226 Depth=1
	s_and_saveexec_b64 s[38:39], s[6:7]
	s_cbranch_execz .LBB6_266
; %bb.254:                              ;   in Loop: Header=BB6_226 Depth=1
	s_mov_b64 s[42:43], exec
	v_mbcnt_lo_u32_b32 v0, s42, 0
	v_mbcnt_hi_u32_b32 v0, s43, v0
	v_cmp_eq_u32_e32 vcc, 0, v0
	s_waitcnt lgkmcnt(0)
	s_and_saveexec_b64 s[40:41], vcc
	s_cbranch_execz .LBB6_256
; %bb.255:                              ;   in Loop: Header=BB6_226 Depth=1
	s_bcnt1_i32_b64 vcc_lo, s[42:43]
	v_mov_b32_e32 v32, vcc_lo
	ds_add_u64 v0, v[32:33]
	s_trap 2
.LBB6_256:                              ;   in Loop: Header=BB6_226 Depth=1
	s_or_b64 exec, exec, s[40:41]
	s_trap 2
	ds_read_b64 v[0:1], v0
	v_lshl_add_u64 v[14:15], v[14:15], 0, v[18:19]
	s_waitcnt lgkmcnt(0)
	v_cmp_lt_u64_e32 vcc, v[0:1], v[14:15]
	s_and_saveexec_b64 s[40:41], vcc
	s_cbranch_execz .LBB6_265
; %bb.257:                              ;   in Loop: Header=BB6_226 Depth=1
	s_mov_b32 s54, 0
	s_mov_b64 s[42:43], 0
                                        ; implicit-def: $sgpr46_sgpr47
                                        ; implicit-def: $sgpr48_sgpr49
	s_branch .LBB6_259
.LBB6_258:                              ;   in Loop: Header=BB6_259 Depth=2
	s_or_b64 exec, exec, s[52:53]
	s_and_b64 vcc, exec, vcc
	s_or_b64 s[42:43], vcc, s[42:43]
	s_andn2_b64 vcc, s[46:47], exec
	s_and_b64 s[46:47], s[48:49], exec
	s_or_b64 s[46:47], vcc, s[46:47]
	s_andn2_b64 exec, exec, s[42:43]
	s_cbranch_execz .LBB6_263
.LBB6_259:                              ;   Parent Loop BB6_226 Depth=1
                                        ; =>  This Inner Loop Header: Depth=2
	s_add_i32 s54, s54, 1
	s_cmpk_lg_i32 s54, 0x2710
	s_cselect_b64 s[50:51], -1, 0
	s_and_b64 vcc, exec, s[50:51]
                                        ; implicit-def: $sgpr52_sgpr53
	s_cbranch_vccnz .LBB6_261
; %bb.260:                              ;   in Loop: Header=BB6_259 Depth=2
	s_trap 2
	ds_read_b64 v[0:1], v0
	s_andn2_b64 s[50:51], s[50:51], exec
	s_mov_b32 s54, 0
	s_mov_b64 s[52:53], -1
	s_waitcnt vmcnt(0) lgkmcnt(0)
	flat_load_dword v0, v[0:1] sc0 sc1
	s_waitcnt vmcnt(0) lgkmcnt(0)
	buffer_inv sc0 sc1
	v_cmp_eq_u32_e32 vcc, 0, v0
	s_and_b64 vcc, vcc, exec
	s_or_b64 s[50:51], s[50:51], vcc
.LBB6_261:                              ;   in Loop: Header=BB6_259 Depth=2
	s_andn2_b64 s[48:49], s[48:49], exec
	s_and_b64 s[52:53], s[52:53], exec
	s_mov_b64 vcc, -1
	s_or_b64 s[48:49], s[48:49], s[52:53]
	s_and_saveexec_b64 s[52:53], s[50:51]
	s_cbranch_execz .LBB6_258
; %bb.262:                              ;   in Loop: Header=BB6_259 Depth=2
	s_sleep 1
	s_trap 2
	ds_read_b64 v[0:1], v0
	s_andn2_b64 s[48:49], s[48:49], exec
	s_waitcnt lgkmcnt(0)
	v_cmp_ge_u64_e32 vcc, v[0:1], v[14:15]
	s_orn2_b64 vcc, vcc, exec
	s_branch .LBB6_258
.LBB6_263:                              ;   in Loop: Header=BB6_226 Depth=1
	s_or_b64 exec, exec, s[42:43]
	s_and_saveexec_b64 vcc, s[46:47]
	s_xor_b64 vcc, exec, vcc
	s_cbranch_execz .LBB6_265
; %bb.264:                              ;   in Loop: Header=BB6_226 Depth=1
	v_mov_b32_e32 v0, 1
	ds_write_b32 v0, v0
	s_trap 2
.LBB6_265:                              ;   in Loop: Header=BB6_226 Depth=1
	s_or_b64 exec, exec, s[40:41]
	;;#ASMSTART
	s_wakeup
	;;#ASMEND
.LBB6_266:                              ;   in Loop: Header=BB6_226 Depth=1
	s_or_b64 exec, exec, s[38:39]
.LBB6_267:                              ;   in Loop: Header=BB6_226 Depth=1
	s_andn2_saveexec_b64 vcc, s[36:37]
	s_cbranch_execz .LBB6_269
; %bb.268:                              ;   in Loop: Header=BB6_226 Depth=1
	s_waitcnt lgkmcnt(0)
	s_barrier
.LBB6_269:                              ;   in Loop: Header=BB6_226 Depth=1
	s_or_b64 exec, exec, vcc
.LBB6_270:                              ;   in Loop: Header=BB6_226 Depth=1
	s_or_b64 exec, exec, s[14:15]
	s_trap 2
	ds_read_b32 v0, v0
	v_and_b32_e32 v1, 0x4000, v56
	v_cmp_ne_u32_e32 vcc, 0, v1
	s_and_b64 vcc, s[26:27], vcc
	s_and_saveexec_b64 s[14:15], vcc
	s_cbranch_execz .LBB6_289
; %bb.271:                              ;   in Loop: Header=BB6_226 Depth=1
	s_and_saveexec_b64 vcc, s[22:23]
	s_xor_b64 s[36:37], exec, vcc
	s_cbranch_execz .LBB6_286
; %bb.272:                              ;   in Loop: Header=BB6_226 Depth=1
	s_and_saveexec_b64 s[38:39], s[6:7]
	s_cbranch_execz .LBB6_285
; %bb.273:                              ;   in Loop: Header=BB6_226 Depth=1
	s_mov_b64 s[42:43], exec
	v_mbcnt_lo_u32_b32 v1, s42, 0
	v_mbcnt_hi_u32_b32 v1, s43, v1
	v_cmp_eq_u32_e32 vcc, 0, v1
	s_waitcnt lgkmcnt(0)
	s_and_saveexec_b64 s[40:41], vcc
	s_cbranch_execz .LBB6_275
; %bb.274:                              ;   in Loop: Header=BB6_226 Depth=1
	s_bcnt1_i32_b64 vcc_lo, s[42:43]
	v_mov_b32_e32 v32, vcc_lo
	ds_add_u64 v0, v[32:33]
	s_trap 2
.LBB6_275:                              ;   in Loop: Header=BB6_226 Depth=1
	s_or_b64 exec, exec, s[40:41]
	s_trap 2
	ds_read_b64 v[2:3], v0
	v_lshl_add_u64 v[14:15], v[14:15], 0, v[18:19]
	s_waitcnt lgkmcnt(0)
	v_cmp_lt_u64_e32 vcc, v[2:3], v[14:15]
	s_and_saveexec_b64 s[40:41], vcc
	s_cbranch_execz .LBB6_284
; %bb.276:                              ;   in Loop: Header=BB6_226 Depth=1
	s_mov_b32 s54, 0
	s_mov_b64 s[42:43], 0
                                        ; implicit-def: $sgpr46_sgpr47
                                        ; implicit-def: $sgpr48_sgpr49
	s_branch .LBB6_278
.LBB6_277:                              ;   in Loop: Header=BB6_278 Depth=2
	s_or_b64 exec, exec, s[52:53]
	s_and_b64 vcc, exec, vcc
	s_or_b64 s[42:43], vcc, s[42:43]
	s_andn2_b64 vcc, s[46:47], exec
	s_and_b64 s[46:47], s[48:49], exec
	s_or_b64 s[46:47], vcc, s[46:47]
	s_andn2_b64 exec, exec, s[42:43]
	s_cbranch_execz .LBB6_282
.LBB6_278:                              ;   Parent Loop BB6_226 Depth=1
                                        ; =>  This Inner Loop Header: Depth=2
	s_add_i32 s54, s54, 1
	s_cmpk_lg_i32 s54, 0x2710
	s_cselect_b64 s[50:51], -1, 0
	s_and_b64 vcc, exec, s[50:51]
                                        ; implicit-def: $sgpr52_sgpr53
	s_cbranch_vccnz .LBB6_280
; %bb.279:                              ;   in Loop: Header=BB6_278 Depth=2
	s_trap 2
	ds_read_b64 v[2:3], v0
	s_andn2_b64 s[50:51], s[50:51], exec
	s_mov_b32 s54, 0
	s_mov_b64 s[52:53], -1
	s_waitcnt vmcnt(0) lgkmcnt(0)
	flat_load_dword v1, v[2:3] sc0 sc1
	s_waitcnt vmcnt(0) lgkmcnt(0)
	buffer_inv sc0 sc1
	v_cmp_eq_u32_e32 vcc, 0, v1
	s_and_b64 vcc, vcc, exec
	s_or_b64 s[50:51], s[50:51], vcc
.LBB6_280:                              ;   in Loop: Header=BB6_278 Depth=2
	s_andn2_b64 s[48:49], s[48:49], exec
	s_and_b64 s[52:53], s[52:53], exec
	s_mov_b64 vcc, -1
	s_or_b64 s[48:49], s[48:49], s[52:53]
	s_and_saveexec_b64 s[52:53], s[50:51]
	s_cbranch_execz .LBB6_277
; %bb.281:                              ;   in Loop: Header=BB6_278 Depth=2
	s_sleep 1
	s_trap 2
	ds_read_b64 v[2:3], v0
	s_andn2_b64 s[48:49], s[48:49], exec
	s_waitcnt lgkmcnt(0)
	v_cmp_ge_u64_e32 vcc, v[2:3], v[14:15]
	s_orn2_b64 vcc, vcc, exec
	s_branch .LBB6_277
.LBB6_282:                              ;   in Loop: Header=BB6_226 Depth=1
	s_or_b64 exec, exec, s[42:43]
	s_and_saveexec_b64 vcc, s[46:47]
	s_xor_b64 vcc, exec, vcc
	s_cbranch_execz .LBB6_284
; %bb.283:                              ;   in Loop: Header=BB6_226 Depth=1
	v_mov_b32_e32 v1, 1
	ds_write_b32 v0, v1
	s_trap 2
.LBB6_284:                              ;   in Loop: Header=BB6_226 Depth=1
	s_or_b64 exec, exec, s[40:41]
	;;#ASMSTART
	s_wakeup
	;;#ASMEND
.LBB6_285:                              ;   in Loop: Header=BB6_226 Depth=1
	s_or_b64 exec, exec, s[38:39]
.LBB6_286:                              ;   in Loop: Header=BB6_226 Depth=1
	s_andn2_saveexec_b64 vcc, s[36:37]
	s_cbranch_execz .LBB6_288
; %bb.287:                              ;   in Loop: Header=BB6_226 Depth=1
	s_waitcnt lgkmcnt(0)
	s_barrier
.LBB6_288:                              ;   in Loop: Header=BB6_226 Depth=1
	s_or_b64 exec, exec, vcc
.LBB6_289:                              ;   in Loop: Header=BB6_226 Depth=1
	s_or_b64 exec, exec, s[14:15]
	s_trap 2
	s_waitcnt lgkmcnt(0)
	ds_read_b64 v[2:3], v0
	v_min_u32_e32 v40, v40, v54
	s_waitcnt lgkmcnt(0)
	v_readfirstlane_b32 s14, v2
	v_readfirstlane_b32 s15, v3
	s_cmp_eq_u64 s[14:15], 0
	s_cselect_b64 s[14:15], -1, 0
	s_or_b64 vcc, s[14:15], s[14:15]
	s_mov_b64 s[14:15], 0
	s_and_b64 vcc, exec, vcc
	s_cbranch_vccnz .LBB6_318
; %bb.290:                              ;   in Loop: Header=BB6_226 Depth=1
	s_mov_b64 s[14:15], -1
	s_and_saveexec_b64 s[36:37], s[10:11]
	s_cbranch_execz .LBB6_292
; %bb.291:                              ;   in Loop: Header=BB6_226 Depth=1
	ds_read_b32 v1, v0 offset:720
	s_waitcnt lgkmcnt(0)
	v_and_b32_e32 v1, 15, v1
	v_cmp_eq_u32_e32 vcc, 0, v1
	s_orn2_b64 s[14:15], vcc, exec
.LBB6_292:                              ;   in Loop: Header=BB6_226 Depth=1
	s_or_b64 exec, exec, s[36:37]
	s_and_saveexec_b64 s[36:37], s[12:13]
	s_cbranch_execz .LBB6_294
; %bb.293:                              ;   in Loop: Header=BB6_226 Depth=1
	ds_read_b32 v1, v0 offset:784
	s_waitcnt lgkmcnt(0)
	v_and_b32_e32 v1, 15, v1
	v_cmp_eq_u32_e32 vcc, 0, v1
	s_and_b64 vcc, s[14:15], vcc
	s_andn2_b64 s[14:15], s[14:15], exec
	s_and_b64 vcc, vcc, exec
	s_or_b64 s[14:15], s[14:15], vcc
.LBB6_294:                              ;   in Loop: Header=BB6_226 Depth=1
	s_or_b64 exec, exec, s[36:37]
	s_xor_b64 s[14:15], s[14:15], -1
	v_cmp_eq_u32_e32 vcc, 0, v0
	v_cndmask_b32_e64 v0, 0, 1, s[14:15]
	;;#ASMSTART
	;;#ASMEND
	v_mov_b32_e32 v12, 0
	v_cndmask_b32_e32 v32, 0, v40, vcc
	s_mov_b64 s[38:39], -1
	v_cmp_ne_u32_e32 vcc, 0, v0
	v_mov_b32_e32 v3, v32
	v_mov_b32_e32 v2, v61
	;; [unrolled: 1-line block ×3, first 2 shown]
	s_cbranch_vccz .LBB6_296
; %bb.295:                              ;   in Loop: Header=BB6_226 Depth=1
	s_and_saveexec_b64 s[14:15], s[38:39]
	s_cbranch_execnz .LBB6_309
	s_branch .LBB6_317
.LBB6_296:                              ;   in Loop: Header=BB6_226 Depth=1
	v_lshrrev_b32_e32 v0, 12, v32
	v_sub_u32_e32 v48, v0, v35
	v_cmp_lt_i32_e32 vcc, 0, v48
	s_and_saveexec_b64 s[14:15], vcc
	s_cbranch_execz .LBB6_300
; %bb.297:                              ;   in Loop: Header=BB6_226 Depth=1
	s_trap 2
	ds_read_b128 v[0:3], v0
	v_accvgpr_read_b32 v6, a34
	v_accvgpr_write_b32 a26, v52
	v_accvgpr_write_b32 a25, v15
	;; [unrolled: 1-line block ×3, first 2 shown]
	s_waitcnt lgkmcnt(0)
	ds_read_b64 v[4:5], v0
	v_accvgpr_write_b32 a14, v26
	v_accvgpr_read_b32 v7, a35
	v_mov_b32_e32 v62, v57
	v_accvgpr_write_b32 a44, v32
	v_accvgpr_write_b32 a43, v40
	;; [unrolled: 1-line block ×11, first 2 shown]
	v_lshl_add_u64 v[0:1], v[0:1], 0, v[6:7]
	v_lshl_add_u64 v[2:3], v[2:3], 0, v[6:7]
	s_waitcnt lgkmcnt(0)
	v_lshl_add_u64 v[30:31], v[4:5], 0, v[6:7]
	s_mov_b64 s[36:37], 0
.LBB6_298:                              ;   Parent Loop BB6_226 Depth=1
                                        ; =>  This Inner Loop Header: Depth=2
	s_trap 2
	global_load_dwordx4 v[10:13], v[0:1], off nt
	ds_read_b32 v4, v0
	s_waitcnt lgkmcnt(0)
	v_and_b32_e32 v4, 0xff, v4
	v_cvt_f32_bf8_sdwa v14, v4 src0_sel:BYTE_0
	s_waitcnt vmcnt(0)
	v_and_b32_e32 v4, 0xff, v10
	v_cvt_f32_bf8_sdwa v4, v4 src0_sel:BYTE_0
	v_bfe_u32 v7, v10, 16, 8
	v_cvt_f32_bf8_sdwa v7, v7 src0_sel:BYTE_0
	v_mul_f32_e32 v4, v14, v4
	v_cmp_nlg_f32_e64 vcc, |v4|, s59
	v_med3_f32 v5, v4, s61, v60
	v_mul_f32_e32 v7, v14, v7
	v_cndmask_b32_e32 v4, v5, v4, vcc
	v_mov_b32_e32 v5, 0
	v_cvt_pk_bf8_f32 v5, v4, v4
	v_bfe_u32 v4, v10, 8, 8
	v_cvt_f32_bf8_sdwa v4, v4 src0_sel:BYTE_0
	v_med3_f32 v8, v7, s61, v60
	v_mul_f32_e32 v4, v14, v4
	v_cmp_nlg_f32_e64 vcc, |v4|, s59
	v_med3_f32 v6, v4, s61, v60
	s_nop 0
	v_cndmask_b32_e32 v4, v6, v4, vcc
	v_mov_b32_e32 v6, 0
	v_cvt_pk_bf8_f32 v6, v4, v4
	v_cmp_nlg_f32_e64 vcc, |v7|, s59
	v_lshlrev_b32_e32 v4, 8, v6
	v_lshrrev_b32_e32 v6, 24, v10
	v_cvt_f32_bf8_sdwa v6, v6 src0_sel:BYTE_0
	v_perm_b32 v54, v4, v5, s62
	v_and_b32_e32 v4, 0xff, v11
	v_cvt_f32_bf8_sdwa v4, v4 src0_sel:BYTE_0
	v_cndmask_b32_e32 v7, v8, v7, vcc
	v_mov_b32_e32 v8, 0
	v_mul_f32_e32 v6, v14, v6
	v_cvt_pk_bf8_f32 v8, v7, v7
	v_cmp_nlg_f32_e64 vcc, |v6|, s59
	v_med3_f32 v7, v6, s61, v60
	v_mul_f32_e32 v4, v14, v4
	v_cndmask_b32_e32 v6, v7, v6, vcc
	v_cmp_nlg_f32_e64 vcc, |v4|, s59
	v_med3_f32 v5, v4, s61, v60
	v_mov_b32_e32 v7, 0
	v_cndmask_b32_e32 v4, v5, v4, vcc
	v_mov_b32_e32 v5, 0
	v_cvt_pk_bf8_f32 v5, v4, v4
	v_bfe_u32 v4, v11, 8, 8
	v_cvt_pk_bf8_f32 v7, v6, v6
	v_cvt_f32_bf8_sdwa v4, v4 src0_sel:BYTE_0
	v_cvt_pk_f32_bf8_e32 v[40:41], v54
	v_lshlrev_b32_e32 v6, 8, v7
	v_mul_f32_e32 v4, v14, v4
	v_perm_b32 v33, v6, v8, s62
	v_cmp_nlg_f32_e64 vcc, |v4|, s59
	v_med3_f32 v6, v4, s61, v60
	v_bfe_u32 v7, v11, 16, 8
	v_cndmask_b32_e32 v4, v6, v4, vcc
	v_mov_b32_e32 v6, 0
	v_cvt_pk_bf8_f32 v6, v4, v4
	v_cvt_f32_bf8_sdwa v7, v7 src0_sel:BYTE_0
	v_lshlrev_b32_e32 v4, 8, v6
	v_lshrrev_b32_e32 v6, 24, v11
	v_cvt_f32_bf8_sdwa v6, v6 src0_sel:BYTE_0
	v_perm_b32 v32, v4, v5, s62
	v_and_b32_e32 v4, 0xff, v12
	v_cvt_f32_bf8_sdwa v4, v4 src0_sel:BYTE_0
	v_mul_f32_e32 v7, v14, v7
	v_cmp_nlg_f32_e64 vcc, |v7|, s59
	v_med3_f32 v8, v7, s61, v60
	v_mul_f32_e32 v6, v14, v6
	v_cndmask_b32_e32 v7, v8, v7, vcc
	v_mov_b32_e32 v8, 0
	v_cvt_pk_bf8_f32 v8, v7, v7
	v_cmp_nlg_f32_e64 vcc, |v6|, s59
	v_med3_f32 v7, v6, s61, v60
	v_mul_f32_e32 v4, v14, v4
	v_cndmask_b32_e32 v6, v7, v6, vcc
	v_cmp_nlg_f32_e64 vcc, |v4|, s59
	v_med3_f32 v5, v4, s61, v60
	v_mov_b32_e32 v7, 0
	v_cndmask_b32_e32 v4, v5, v4, vcc
	v_mov_b32_e32 v5, 0
	v_cvt_pk_bf8_f32 v5, v4, v4
	v_bfe_u32 v4, v12, 8, 8
	v_cvt_pk_bf8_f32 v7, v6, v6
	v_cvt_f32_bf8_sdwa v4, v4 src0_sel:BYTE_0
	v_lshlrev_b32_e32 v6, 8, v7
	v_mul_f32_e32 v4, v14, v4
	v_perm_b32 v55, v6, v8, s62
	v_cmp_nlg_f32_e64 vcc, |v4|, s59
	v_med3_f32 v6, v4, s61, v60
	v_bfe_u32 v7, v12, 16, 8
	v_cndmask_b32_e32 v4, v6, v4, vcc
	v_mov_b32_e32 v6, 0
	v_cvt_pk_bf8_f32 v6, v4, v4
	v_cvt_f32_bf8_sdwa v7, v7 src0_sel:BYTE_0
	v_lshlrev_b32_e32 v4, 8, v6
	v_lshrrev_b32_e32 v6, 24, v12
	v_cvt_f32_bf8_sdwa v6, v6 src0_sel:BYTE_0
	v_perm_b32 v43, v4, v5, s62
	v_and_b32_e32 v4, 0xff, v13
	v_cvt_f32_bf8_sdwa v4, v4 src0_sel:BYTE_0
	v_mul_f32_e32 v7, v14, v7
	v_cmp_nlg_f32_e64 vcc, |v7|, s59
	v_med3_f32 v8, v7, s61, v60
	v_mul_f32_e32 v6, v14, v6
	v_cndmask_b32_e32 v7, v8, v7, vcc
	v_mov_b32_e32 v8, 0
	v_cvt_pk_bf8_f32 v8, v7, v7
	v_cmp_nlg_f32_e64 vcc, |v6|, s59
	v_med3_f32 v7, v6, s61, v60
	v_mul_f32_e32 v4, v14, v4
	v_cndmask_b32_e32 v6, v7, v6, vcc
	v_cmp_nlg_f32_e64 vcc, |v4|, s59
	v_med3_f32 v5, v4, s61, v60
	v_mov_b32_e32 v7, 0
	v_cndmask_b32_e32 v4, v5, v4, vcc
	v_mov_b32_e32 v5, 0
	v_cvt_pk_bf8_f32 v5, v4, v4
	v_bfe_u32 v4, v13, 8, 8
	v_cvt_pk_bf8_f32 v7, v6, v6
	v_cvt_f32_bf8_sdwa v4, v4 src0_sel:BYTE_0
	v_lshlrev_b32_e32 v6, 8, v7
	v_mul_f32_e32 v4, v14, v4
	v_perm_b32 v59, v6, v8, s62
	v_cmp_nlg_f32_e64 vcc, |v4|, s59
	v_med3_f32 v6, v4, s61, v60
	v_bfe_u32 v7, v13, 16, 8
	v_cndmask_b32_e32 v4, v6, v4, vcc
	v_mov_b32_e32 v6, 0
	v_cvt_pk_bf8_f32 v6, v4, v4
	v_cvt_f32_bf8_sdwa v7, v7 src0_sel:BYTE_0
	v_lshlrev_b32_e32 v4, 8, v6
	v_lshrrev_b32_e32 v6, 24, v13
	global_load_dwordx4 v[10:13], v[0:1], off offset:1024 nt
	v_cvt_f32_bf8_sdwa v6, v6 src0_sel:BYTE_0
	v_perm_b32 v51, v4, v5, s62
	v_mul_f32_e32 v7, v14, v7
	v_cmp_nlg_f32_e64 vcc, |v7|, s59
	v_med3_f32 v8, v7, s61, v60
	v_mul_f32_e32 v6, v14, v6
	v_cndmask_b32_e32 v7, v8, v7, vcc
	v_mov_b32_e32 v8, 0
	v_cvt_pk_bf8_f32 v8, v7, v7
	v_cmp_nlg_f32_e64 vcc, |v6|, s59
	v_med3_f32 v7, v6, s61, v60
	s_waitcnt vmcnt(0)
	v_and_b32_e32 v4, 0xff, v10
	v_cvt_f32_bf8_sdwa v4, v4 src0_sel:BYTE_0
	v_cndmask_b32_e32 v6, v7, v6, vcc
	v_mov_b32_e32 v7, 0
	v_cvt_pk_bf8_f32 v7, v6, v6
	v_mul_f32_e32 v4, v14, v4
	v_cmp_nlg_f32_e64 vcc, |v4|, s59
	v_med3_f32 v5, v4, s61, v60
	v_lshlrev_b32_e32 v6, 8, v7
	v_cndmask_b32_e32 v4, v5, v4, vcc
	v_mov_b32_e32 v5, 0
	v_cvt_pk_bf8_f32 v5, v4, v4
	v_bfe_u32 v4, v10, 8, 8
	v_cvt_f32_bf8_sdwa v4, v4 src0_sel:BYTE_0
	v_perm_b32 v50, v6, v8, s62
	v_bfe_u32 v7, v10, 16, 8
	v_cvt_f32_bf8_sdwa v7, v7 src0_sel:BYTE_0
	v_mul_f32_e32 v4, v14, v4
	v_cmp_nlg_f32_e64 vcc, |v4|, s59
	v_med3_f32 v6, v4, s61, v60
	v_mul_f32_e32 v7, v14, v7
	v_cndmask_b32_e32 v4, v6, v4, vcc
	v_mov_b32_e32 v6, 0
	v_cvt_pk_bf8_f32 v6, v4, v4
	v_cmp_nlg_f32_e64 vcc, |v7|, s59
	v_med3_f32 v8, v7, s61, v60
	v_lshlrev_b32_e32 v4, 8, v6
	v_lshrrev_b32_e32 v6, 24, v10
	v_cvt_f32_bf8_sdwa v6, v6 src0_sel:BYTE_0
	v_perm_b32 v58, v4, v5, s62
	v_and_b32_e32 v4, 0xff, v11
	v_cvt_f32_bf8_sdwa v4, v4 src0_sel:BYTE_0
	v_cndmask_b32_e32 v7, v8, v7, vcc
	v_mov_b32_e32 v8, 0
	v_mul_f32_e32 v6, v14, v6
	v_cvt_pk_bf8_f32 v8, v7, v7
	v_cmp_nlg_f32_e64 vcc, |v6|, s59
	v_med3_f32 v7, v6, s61, v60
	v_mul_f32_e32 v4, v14, v4
	v_cndmask_b32_e32 v6, v7, v6, vcc
	v_cmp_nlg_f32_e64 vcc, |v4|, s59
	v_med3_f32 v5, v4, s61, v60
	v_mov_b32_e32 v7, 0
	v_cndmask_b32_e32 v4, v5, v4, vcc
	v_mov_b32_e32 v5, 0
	v_cvt_pk_bf8_f32 v5, v4, v4
	v_bfe_u32 v4, v11, 8, 8
	v_cvt_pk_bf8_f32 v7, v6, v6
	v_cvt_f32_bf8_sdwa v4, v4 src0_sel:BYTE_0
	v_lshlrev_b32_e32 v6, 8, v7
	v_mul_f32_e32 v4, v14, v4
	v_perm_b32 v37, v6, v8, s62
	v_cmp_nlg_f32_e64 vcc, |v4|, s59
	v_med3_f32 v6, v4, s61, v60
	v_bfe_u32 v7, v11, 16, 8
	v_cndmask_b32_e32 v4, v6, v4, vcc
	v_mov_b32_e32 v6, 0
	v_cvt_pk_bf8_f32 v6, v4, v4
	v_cvt_f32_bf8_sdwa v7, v7 src0_sel:BYTE_0
	v_lshlrev_b32_e32 v4, 8, v6
	v_lshrrev_b32_e32 v6, 24, v11
	v_cvt_f32_bf8_sdwa v6, v6 src0_sel:BYTE_0
	v_perm_b32 v36, v4, v5, s62
	v_and_b32_e32 v4, 0xff, v12
	v_cvt_f32_bf8_sdwa v4, v4 src0_sel:BYTE_0
	v_mul_f32_e32 v7, v14, v7
	v_cmp_nlg_f32_e64 vcc, |v7|, s59
	v_med3_f32 v8, v7, s61, v60
	v_mul_f32_e32 v6, v14, v6
	v_cndmask_b32_e32 v7, v8, v7, vcc
	v_mov_b32_e32 v8, 0
	v_cvt_pk_bf8_f32 v8, v7, v7
	v_cmp_nlg_f32_e64 vcc, |v6|, s59
	v_med3_f32 v7, v6, s61, v60
	v_mul_f32_e32 v4, v14, v4
	v_cndmask_b32_e32 v6, v7, v6, vcc
	v_cmp_nlg_f32_e64 vcc, |v4|, s59
	v_med3_f32 v5, v4, s61, v60
	v_mov_b32_e32 v7, 0
	v_cndmask_b32_e32 v4, v5, v4, vcc
	v_mov_b32_e32 v5, 0
	v_cvt_pk_bf8_f32 v5, v4, v4
	v_bfe_u32 v4, v12, 8, 8
	v_cvt_pk_bf8_f32 v7, v6, v6
	v_cvt_f32_bf8_sdwa v4, v4 src0_sel:BYTE_0
	v_lshlrev_b32_e32 v6, 8, v7
	v_mul_f32_e32 v4, v14, v4
	v_perm_b32 v47, v6, v8, s62
	v_cmp_nlg_f32_e64 vcc, |v4|, s59
	v_med3_f32 v6, v4, s61, v60
	v_bfe_u32 v7, v12, 16, 8
	v_cndmask_b32_e32 v4, v6, v4, vcc
	v_mov_b32_e32 v6, 0
	v_cvt_pk_bf8_f32 v6, v4, v4
	v_cvt_f32_bf8_sdwa v7, v7 src0_sel:BYTE_0
	v_lshlrev_b32_e32 v4, 8, v6
	v_lshrrev_b32_e32 v6, 24, v12
	v_cvt_f32_bf8_sdwa v6, v6 src0_sel:BYTE_0
	v_perm_b32 v46, v4, v5, s62
	v_and_b32_e32 v4, 0xff, v13
	v_cvt_f32_bf8_sdwa v4, v4 src0_sel:BYTE_0
	v_mul_f32_e32 v7, v14, v7
	v_cmp_nlg_f32_e64 vcc, |v7|, s59
	v_med3_f32 v8, v7, s61, v60
	v_mul_f32_e32 v6, v14, v6
	v_cndmask_b32_e32 v7, v8, v7, vcc
	v_mov_b32_e32 v8, 0
	v_cvt_pk_bf8_f32 v8, v7, v7
	v_cmp_nlg_f32_e64 vcc, |v6|, s59
	v_med3_f32 v7, v6, s61, v60
	v_mul_f32_e32 v4, v14, v4
	v_cndmask_b32_e32 v6, v7, v6, vcc
	v_cmp_nlg_f32_e64 vcc, |v4|, s59
	v_med3_f32 v5, v4, s61, v60
	v_mov_b32_e32 v7, 0
	v_cndmask_b32_e32 v4, v5, v4, vcc
	v_mov_b32_e32 v5, 0
	v_cvt_pk_bf8_f32 v5, v4, v4
	v_bfe_u32 v4, v13, 8, 8
	v_cvt_pk_bf8_f32 v7, v6, v6
	v_cvt_f32_bf8_sdwa v4, v4 src0_sel:BYTE_0
	v_lshlrev_b32_e32 v6, 8, v7
	v_mul_f32_e32 v4, v14, v4
	v_perm_b32 v28, v6, v8, s62
	v_cmp_nlg_f32_e64 vcc, |v4|, s59
	v_med3_f32 v6, v4, s61, v60
	v_bfe_u32 v7, v13, 16, 8
	v_cndmask_b32_e32 v4, v6, v4, vcc
	v_mov_b32_e32 v6, 0
	v_cvt_pk_bf8_f32 v6, v4, v4
	v_cvt_f32_bf8_sdwa v7, v7 src0_sel:BYTE_0
	v_lshlrev_b32_e32 v4, 8, v6
	v_lshrrev_b32_e32 v6, 24, v13
	global_load_dwordx4 v[10:13], v[0:1], off offset:2048 nt
	v_cvt_f32_bf8_sdwa v6, v6 src0_sel:BYTE_0
	v_perm_b32 v29, v4, v5, s62
	v_mul_f32_e32 v7, v14, v7
	v_cmp_nlg_f32_e64 vcc, |v7|, s59
	v_med3_f32 v8, v7, s61, v60
	v_mul_f32_e32 v6, v14, v6
	v_cndmask_b32_e32 v7, v8, v7, vcc
	v_mov_b32_e32 v8, 0
	v_cvt_pk_bf8_f32 v8, v7, v7
	v_cmp_nlg_f32_e64 vcc, |v6|, s59
	v_med3_f32 v7, v6, s61, v60
	s_waitcnt vmcnt(0)
	v_and_b32_e32 v4, 0xff, v10
	v_cvt_f32_bf8_sdwa v4, v4 src0_sel:BYTE_0
	v_cndmask_b32_e32 v6, v7, v6, vcc
	v_mov_b32_e32 v7, 0
	v_cvt_pk_bf8_f32 v7, v6, v6
	v_mul_f32_e32 v4, v14, v4
	v_cmp_nlg_f32_e64 vcc, |v4|, s59
	v_med3_f32 v5, v4, s61, v60
	v_lshlrev_b32_e32 v6, 8, v7
	v_cndmask_b32_e32 v4, v5, v4, vcc
	v_mov_b32_e32 v5, 0
	v_cvt_pk_bf8_f32 v5, v4, v4
	v_bfe_u32 v4, v10, 8, 8
	v_cvt_f32_bf8_sdwa v4, v4 src0_sel:BYTE_0
	v_perm_b32 v42, v6, v8, s62
	v_bfe_u32 v7, v10, 16, 8
	v_cvt_f32_bf8_sdwa v7, v7 src0_sel:BYTE_0
	v_mul_f32_e32 v4, v14, v4
	v_cmp_nlg_f32_e64 vcc, |v4|, s59
	v_med3_f32 v6, v4, s61, v60
	v_mul_f32_e32 v7, v14, v7
	v_cndmask_b32_e32 v4, v6, v4, vcc
	v_mov_b32_e32 v6, 0
	v_cvt_pk_bf8_f32 v6, v4, v4
	v_cmp_nlg_f32_e64 vcc, |v7|, s59
	v_med3_f32 v8, v7, s61, v60
	v_lshlrev_b32_e32 v4, 8, v6
	v_lshrrev_b32_e32 v6, 24, v10
	v_cvt_f32_bf8_sdwa v6, v6 src0_sel:BYTE_0
	v_perm_b32 v45, v4, v5, s62
	v_and_b32_e32 v4, 0xff, v11
	v_cvt_f32_bf8_sdwa v4, v4 src0_sel:BYTE_0
	v_cndmask_b32_e32 v7, v8, v7, vcc
	v_mov_b32_e32 v8, 0
	v_mul_f32_e32 v6, v14, v6
	v_cvt_pk_bf8_f32 v8, v7, v7
	v_cmp_nlg_f32_e64 vcc, |v6|, s59
	v_med3_f32 v7, v6, s61, v60
	v_mul_f32_e32 v4, v14, v4
	v_cndmask_b32_e32 v6, v7, v6, vcc
	v_cmp_nlg_f32_e64 vcc, |v4|, s59
	v_med3_f32 v5, v4, s61, v60
	v_mov_b32_e32 v7, 0
	v_cndmask_b32_e32 v4, v5, v4, vcc
	v_mov_b32_e32 v5, 0
	v_cvt_pk_bf8_f32 v5, v4, v4
	v_bfe_u32 v4, v11, 8, 8
	v_cvt_pk_bf8_f32 v7, v6, v6
	v_cvt_f32_bf8_sdwa v4, v4 src0_sel:BYTE_0
	v_lshlrev_b32_e32 v6, 8, v7
	v_mul_f32_e32 v4, v14, v4
	v_perm_b32 v44, v6, v8, s62
	v_cmp_nlg_f32_e64 vcc, |v4|, s59
	v_med3_f32 v6, v4, s61, v60
	v_bfe_u32 v7, v11, 16, 8
	v_cndmask_b32_e32 v4, v6, v4, vcc
	v_mov_b32_e32 v6, 0
	v_cvt_pk_bf8_f32 v6, v4, v4
	v_cvt_f32_bf8_sdwa v7, v7 src0_sel:BYTE_0
	v_lshlrev_b32_e32 v4, 8, v6
	v_lshrrev_b32_e32 v6, 24, v11
	v_cvt_f32_bf8_sdwa v6, v6 src0_sel:BYTE_0
	v_perm_b32 v9, v4, v5, s62
	v_and_b32_e32 v4, 0xff, v12
	v_cvt_f32_bf8_sdwa v4, v4 src0_sel:BYTE_0
	v_mul_f32_e32 v7, v14, v7
	v_cmp_nlg_f32_e64 vcc, |v7|, s59
	v_med3_f32 v8, v7, s61, v60
	v_mul_f32_e32 v6, v14, v6
	v_cndmask_b32_e32 v7, v8, v7, vcc
	v_mov_b32_e32 v8, 0
	v_cvt_pk_bf8_f32 v8, v7, v7
	v_cmp_nlg_f32_e64 vcc, |v6|, s59
	v_med3_f32 v7, v6, s61, v60
	v_mul_f32_e32 v4, v14, v4
	v_cndmask_b32_e32 v6, v7, v6, vcc
	v_cmp_nlg_f32_e64 vcc, |v4|, s59
	v_med3_f32 v5, v4, s61, v60
	v_mov_b32_e32 v7, 0
	v_cndmask_b32_e32 v4, v5, v4, vcc
	v_mov_b32_e32 v5, 0
	v_cvt_pk_bf8_f32 v5, v4, v4
	v_bfe_u32 v4, v12, 8, 8
	v_cvt_pk_bf8_f32 v7, v6, v6
	v_cvt_f32_bf8_sdwa v4, v4 src0_sel:BYTE_0
	v_bfe_u32 v11, v13, 16, 8
	v_cvt_f32_bf8_sdwa v11, v11 src0_sel:BYTE_0
	v_lshlrev_b32_e32 v6, 8, v7
	v_mul_f32_e32 v4, v14, v4
	v_perm_b32 v8, v6, v8, s62
	v_cmp_nlg_f32_e64 vcc, |v4|, s59
	v_med3_f32 v6, v4, s61, v60
	v_bfe_u32 v7, v12, 16, 8
	v_cndmask_b32_e32 v4, v6, v4, vcc
	v_mov_b32_e32 v6, 0
	v_cvt_pk_bf8_f32 v6, v4, v4
	v_cvt_f32_bf8_sdwa v7, v7 src0_sel:BYTE_0
	v_mul_f32_e32 v11, v14, v11
	v_lshlrev_b32_e32 v4, 8, v6
	v_lshrrev_b32_e32 v6, 24, v12
	v_cvt_f32_bf8_sdwa v6, v6 src0_sel:BYTE_0
	v_mul_f32_e32 v7, v14, v7
	v_cmp_nlg_f32_e64 vcc, |v7|, s59
	v_med3_f32 v10, v7, s61, v60
	v_mul_f32_e32 v6, v14, v6
	v_cndmask_b32_e32 v7, v10, v7, vcc
	v_mov_b32_e32 v10, 0
	v_cvt_pk_bf8_f32 v10, v7, v7
	v_cmp_nlg_f32_e64 vcc, |v6|, s59
	v_med3_f32 v7, v6, s61, v60
	v_med3_f32 v12, v11, s61, v60
	v_cndmask_b32_e32 v6, v7, v6, vcc
	v_mov_b32_e32 v7, 0
	v_cvt_pk_bf8_f32 v7, v6, v6
	v_lshlrev_b32_e32 v6, 8, v7
	v_perm_b32 v7, v4, v5, s62
	v_and_b32_e32 v4, 0xff, v13
	v_cvt_f32_bf8_sdwa v4, v4 src0_sel:BYTE_0
	v_perm_b32 v6, v6, v10, s62
	v_mul_f32_e32 v4, v14, v4
	v_cmp_nlg_f32_e64 vcc, |v4|, s59
	v_med3_f32 v5, v4, s61, v60
	s_nop 0
	v_cndmask_b32_e32 v4, v5, v4, vcc
	v_mov_b32_e32 v5, 0
	v_cvt_pk_bf8_f32 v5, v4, v4
	v_bfe_u32 v4, v13, 8, 8
	v_cvt_f32_bf8_sdwa v4, v4 src0_sel:BYTE_0
	s_nop 0
	v_mul_f32_e32 v4, v14, v4
	v_cmp_nlg_f32_e64 vcc, |v4|, s59
	v_med3_f32 v10, v4, s61, v60
	s_nop 0
	v_cndmask_b32_e32 v4, v10, v4, vcc
	v_mov_b32_e32 v10, 0
	v_cvt_pk_bf8_f32 v10, v4, v4
	v_lshrrev_b32_e32 v4, 24, v13
	v_cvt_f32_bf8_sdwa v4, v4 src0_sel:BYTE_0
	v_cmp_nlg_f32_e64 vcc, |v11|, s59
	v_lshlrev_b32_e32 v10, 8, v10
	v_perm_b32 v5, v10, v5, s62
	v_cndmask_b32_e32 v11, v12, v11, vcc
	v_mov_b32_e32 v12, 0
	v_mul_f32_e32 v4, v14, v4
	v_cvt_pk_bf8_f32 v12, v11, v11
	v_cmp_nlg_f32_e64 vcc, |v4|, s59
	v_med3_f32 v11, v4, s61, v60
	s_nop 0
	v_cndmask_b32_e32 v4, v11, v4, vcc
	v_mov_b32_e32 v11, 0
	v_cvt_pk_bf8_f32 v11, v4, v4
	v_lshlrev_b32_e32 v4, 8, v11
	v_perm_b32 v4, v4, v12, s62
	global_load_dwordx4 v[10:13], v[0:1], off offset:3072 nt
	s_waitcnt vmcnt(0)
	v_and_b32_e32 v15, 0xff, v10
	v_cvt_f32_bf8_sdwa v15, v15 src0_sel:BYTE_0
	s_nop 0
	v_mul_f32_e32 v15, v14, v15
	v_cmp_nlg_f32_e64 vcc, |v15|, s59
	v_med3_f32 v16, v15, s61, v60
	s_nop 0
	v_cndmask_b32_e32 v15, v16, v15, vcc
	v_mov_b32_e32 v16, 0
	v_cvt_pk_bf8_f32 v16, v15, v15
	v_bfe_u32 v15, v10, 8, 8
	v_cvt_f32_bf8_sdwa v15, v15 src0_sel:BYTE_0
	s_nop 0
	v_mul_f32_e32 v15, v14, v15
	v_cmp_nlg_f32_e64 vcc, |v15|, s59
	v_med3_f32 v17, v15, s61, v60
	s_nop 0
	v_cndmask_b32_e32 v15, v17, v15, vcc
	v_mov_b32_e32 v17, 0
	v_cvt_pk_bf8_f32 v17, v15, v15
	v_lshlrev_b32_e32 v15, 8, v17
	v_lshrrev_b32_e32 v17, 24, v10
	v_bfe_u32 v10, v10, 16, 8
	v_cvt_f32_bf8_sdwa v10, v10 src0_sel:BYTE_0
	v_perm_b32 v27, v15, v16, s62
	v_mul_f32_e32 v10, v14, v10
	v_cmp_nlg_f32_e64 vcc, |v10|, s59
	v_med3_f32 v18, v10, s61, v60
	s_nop 0
	v_cndmask_b32_e32 v10, v18, v10, vcc
	v_mov_b32_e32 v18, 0
	v_cvt_pk_bf8_f32 v18, v10, v10
	v_cvt_f32_bf8_sdwa v10, v17 src0_sel:BYTE_0
	s_nop 0
	v_mul_f32_e32 v10, v14, v10
	v_cmp_nlg_f32_e64 vcc, |v10|, s59
	v_med3_f32 v17, v10, s61, v60
	s_nop 0
	v_cndmask_b32_e32 v10, v17, v10, vcc
	v_mov_b32_e32 v17, 0
	v_cvt_pk_bf8_f32 v17, v10, v10
	v_lshlrev_b32_e32 v10, 8, v17
	v_perm_b32 v26, v10, v18, s62
	v_and_b32_e32 v10, 0xff, v11
	v_cvt_f32_bf8_sdwa v10, v10 src0_sel:BYTE_0
	s_nop 0
	v_mul_f32_e32 v10, v14, v10
	v_cmp_nlg_f32_e64 vcc, |v10|, s59
	v_med3_f32 v15, v10, s61, v60
	s_nop 0
	v_cndmask_b32_e32 v10, v15, v10, vcc
	v_mov_b32_e32 v15, 0
	v_cvt_pk_bf8_f32 v15, v10, v10
	v_bfe_u32 v10, v11, 8, 8
	v_cvt_f32_bf8_sdwa v10, v10 src0_sel:BYTE_0
	s_nop 0
	v_mul_f32_e32 v10, v14, v10
	v_cmp_nlg_f32_e64 vcc, |v10|, s59
	v_med3_f32 v16, v10, s61, v60
	s_nop 0
	v_cndmask_b32_e32 v10, v16, v10, vcc
	v_mov_b32_e32 v16, 0
	v_cvt_pk_bf8_f32 v16, v10, v10
	v_lshlrev_b32_e32 v10, 8, v16
	v_lshrrev_b32_e32 v16, 24, v11
	v_bfe_u32 v11, v11, 16, 8
	v_cvt_f32_bf8_sdwa v11, v11 src0_sel:BYTE_0
	v_perm_b32 v35, v10, v15, s62
	v_and_b32_e32 v10, 0xff, v12
	v_cvt_f32_bf8_sdwa v10, v10 src0_sel:BYTE_0
	v_mul_f32_e32 v11, v14, v11
	v_cmp_nlg_f32_e64 vcc, |v11|, s59
	v_med3_f32 v17, v11, s61, v60
	v_mul_f32_e32 v10, v14, v10
	v_cndmask_b32_e32 v11, v17, v11, vcc
	v_mov_b32_e32 v17, 0
	v_cvt_pk_bf8_f32 v17, v11, v11
	v_cvt_f32_bf8_sdwa v11, v16 src0_sel:BYTE_0
	s_nop 0
	v_mul_f32_e32 v11, v14, v11
	v_cmp_nlg_f32_e64 vcc, |v11|, s59
	v_med3_f32 v16, v11, s61, v60
	s_nop 0
	v_cndmask_b32_e32 v11, v16, v11, vcc
	v_mov_b32_e32 v16, 0
	v_cvt_pk_bf8_f32 v16, v11, v11
	v_cmp_nlg_f32_e64 vcc, |v10|, s59
	v_lshlrev_b32_e32 v11, 8, v16
	v_perm_b32 v34, v11, v17, s62
	v_med3_f32 v11, v10, s61, v60
	v_cndmask_b32_e32 v10, v11, v10, vcc
	v_mov_b32_e32 v11, 0
	v_cvt_pk_bf8_f32 v11, v10, v10
	v_bfe_u32 v10, v12, 8, 8
	v_cvt_f32_bf8_sdwa v10, v10 src0_sel:BYTE_0
	s_nop 0
	v_mul_f32_e32 v10, v14, v10
	v_cmp_nlg_f32_e64 vcc, |v10|, s59
	v_med3_f32 v15, v10, s61, v60
	s_nop 0
	v_cndmask_b32_e32 v10, v15, v10, vcc
	v_mov_b32_e32 v15, 0
	v_cvt_pk_bf8_f32 v15, v10, v10
	v_lshlrev_b32_e32 v10, 8, v15
	v_lshrrev_b32_e32 v15, 24, v12
	v_bfe_u32 v12, v12, 16, 8
	v_cvt_f32_bf8_sdwa v12, v12 src0_sel:BYTE_0
	v_perm_b32 v39, v10, v11, s62
	v_and_b32_e32 v10, 0xff, v13
	v_cvt_f32_bf8_sdwa v10, v10 src0_sel:BYTE_0
	v_mul_f32_e32 v12, v14, v12
	v_cmp_nlg_f32_e64 vcc, |v12|, s59
	v_med3_f32 v16, v12, s61, v60
	v_mul_f32_e32 v10, v14, v10
	v_cndmask_b32_e32 v12, v16, v12, vcc
	v_mov_b32_e32 v16, 0
	v_cvt_pk_bf8_f32 v16, v12, v12
	v_cvt_f32_bf8_sdwa v12, v15 src0_sel:BYTE_0
	v_med3_f32 v11, v10, s61, v60
	v_mul_f32_e32 v12, v14, v12
	v_cmp_nlg_f32_e64 vcc, |v12|, s59
	v_med3_f32 v15, v12, s61, v60
	s_nop 0
	v_cndmask_b32_e32 v12, v15, v12, vcc
	v_cmp_nlg_f32_e64 vcc, |v10|, s59
	v_mov_b32_e32 v15, 0
	v_cvt_pk_bf8_f32 v15, v12, v12
	v_cndmask_b32_e32 v10, v11, v10, vcc
	v_mov_b32_e32 v11, 0
	v_cvt_pk_bf8_f32 v11, v10, v10
	v_bfe_u32 v10, v13, 8, 8
	v_cvt_f32_bf8_sdwa v10, v10 src0_sel:BYTE_0
	v_lshlrev_b32_e32 v12, 8, v15
	v_perm_b32 v38, v12, v16, s62
	v_mul_f32_e32 v10, v14, v10
	v_cmp_nlg_f32_e64 vcc, |v10|, s59
	v_med3_f32 v12, v10, s61, v60
	s_nop 0
	v_cndmask_b32_e32 v10, v12, v10, vcc
	v_mov_b32_e32 v12, 0
	v_cvt_pk_bf8_f32 v12, v10, v10
	v_lshlrev_b32_e32 v10, 8, v12
	v_lshrrev_b32_e32 v12, 24, v13
	v_bfe_u32 v13, v13, 16, 8
	v_cvt_f32_bf8_sdwa v13, v13 src0_sel:BYTE_0
	v_cvt_f32_bf8_sdwa v12, v12 src0_sel:BYTE_0
	v_perm_b32 v52, v10, v11, s62
	v_mul_f32_e32 v13, v14, v13
	v_cmp_nlg_f32_e64 vcc, |v13|, s59
	v_med3_f32 v15, v13, s61, v60
	v_mul_f32_e32 v12, v14, v12
	v_cndmask_b32_e32 v13, v15, v13, vcc
	v_mov_b32_e32 v15, 0
	v_cvt_pk_bf8_f32 v15, v13, v13
	v_cmp_nlg_f32_e64 vcc, |v12|, s59
	v_med3_f32 v13, v12, s61, v60
	s_nop 0
	v_cndmask_b32_e32 v12, v13, v12, vcc
	v_mov_b32_e32 v13, 0
	v_cvt_pk_bf8_f32 v13, v12, v12
	v_lshlrev_b32_e32 v12, 8, v13
	v_perm_b32 v49, v12, v15, s62
	global_load_dwordx4 v[10:13], v[2:3], off nt
	global_load_dwordx4 v[14:17], v[2:3], off offset:1024 nt
	global_load_dwordx4 v[18:21], v[2:3], off offset:2048 nt
	;; [unrolled: 1-line block ×3, first 2 shown]
	s_waitcnt vmcnt(3)
	v_lshrrev_b32_e32 v53, 16, v10
	v_and_b32_e32 v10, 0xffff, v10
	v_cvt_pk_f32_bf8_e32 v[56:57], v10
	;;#ASMSTART
	v_pk_add_f32 v[40:41], v[40:41], v[56:57]
	;;#ASMEND
	v_mov_b32_e32 v10, 0
	v_cvt_pk_bf8_f32 v10, v40, v41
	v_cvt_pk_f32_bf8_e32 v[40:41], v33
	v_mov_b32_e32 v33, 0
	v_cvt_pk_f32_bf8_e32 v[56:57], v53
	;;#ASMSTART
	v_pk_add_f32 v[40:41], v[40:41], v[56:57]
	;;#ASMEND
	v_and_b32_e32 v10, 0xffff, v10
	v_cvt_pk_bf8_f32 v33, v40, v41
	v_lshrrev_b32_e32 v53, 16, v11
	v_and_b32_e32 v11, 0xffff, v11
	v_cvt_pk_f32_bf8_e32 v[40:41], v11
	v_lshl_or_b32 v10, v33, 16, v10
	v_cvt_pk_f32_bf8_e32 v[32:33], v32
	;;#ASMSTART
	v_pk_add_f32 v[32:33], v[32:33], v[40:41]
	;;#ASMEND
	v_mov_b32_e32 v11, 0
	v_cvt_pk_bf8_f32 v11, v32, v33
	v_cvt_pk_f32_bf8_e32 v[32:33], v55
	v_cvt_pk_f32_bf8_e32 v[54:55], v53
	v_mov_b32_e32 v53, 0
	;;#ASMSTART
	v_pk_add_f32 v[32:33], v[32:33], v[54:55]
	;;#ASMEND
	v_and_b32_e32 v11, 0xffff, v11
	v_cvt_pk_bf8_f32 v53, v32, v33
	v_cvt_pk_f32_bf8_e32 v[32:33], v43
	v_lshl_or_b32 v11, v53, 16, v11
	v_lshrrev_b32_e32 v53, 16, v12
	v_and_b32_e32 v12, 0xffff, v12
	v_cvt_pk_f32_bf8_e32 v[54:55], v12
	;;#ASMSTART
	v_pk_add_f32 v[32:33], v[32:33], v[54:55]
	;;#ASMEND
	v_mov_b32_e32 v12, 0
	v_cvt_pk_bf8_f32 v12, v32, v33
	v_cvt_pk_f32_bf8_e32 v[32:33], v59
	v_cvt_pk_f32_bf8_e32 v[54:55], v53
	v_mov_b32_e32 v53, 0
	;;#ASMSTART
	v_pk_add_f32 v[32:33], v[32:33], v[54:55]
	;;#ASMEND
	v_and_b32_e32 v12, 0xffff, v12
	v_cvt_pk_bf8_f32 v53, v32, v33
	v_cvt_pk_f32_bf8_e32 v[32:33], v51
	v_lshl_or_b32 v12, v53, 16, v12
	v_lshrrev_b32_e32 v53, 16, v13
	v_and_b32_e32 v13, 0xffff, v13
	v_cvt_pk_f32_bf8_e32 v[54:55], v13
	;;#ASMSTART
	v_pk_add_f32 v[32:33], v[32:33], v[54:55]
	;;#ASMEND
	v_mov_b32_e32 v13, 0
	v_cvt_pk_bf8_f32 v13, v32, v33
	v_cvt_pk_f32_bf8_e32 v[32:33], v50
	v_cvt_pk_f32_bf8_e32 v[50:51], v53
	;;#ASMSTART
	v_pk_add_f32 v[32:33], v[32:33], v[50:51]
	;;#ASMEND
	v_mov_b32_e32 v50, 0
	v_cvt_pk_bf8_f32 v50, v32, v33
	v_and_b32_e32 v13, 0xffff, v13
	s_waitcnt vmcnt(2)
	v_lshrrev_b32_e32 v53, 16, v14
	v_cvt_pk_f32_bf8_e32 v[32:33], v58
	v_and_b32_e32 v14, 0xffff, v14
	v_lshl_or_b32 v13, v50, 16, v13
	v_cvt_pk_f32_bf8_e32 v[50:51], v14
	;;#ASMSTART
	v_pk_add_f32 v[32:33], v[32:33], v[50:51]
	;;#ASMEND
	v_mov_b32_e32 v14, 0
	v_cvt_pk_bf8_f32 v14, v32, v33
	v_cvt_pk_f32_bf8_e32 v[32:33], v37
	v_mov_b32_e32 v37, 0
	v_cvt_pk_f32_bf8_e32 v[50:51], v53
	;;#ASMSTART
	v_pk_add_f32 v[32:33], v[32:33], v[50:51]
	;;#ASMEND
	v_and_b32_e32 v14, 0xffff, v14
	v_cvt_pk_bf8_f32 v37, v32, v33
	v_lshrrev_b32_e32 v50, 16, v15
	v_cvt_pk_f32_bf8_e32 v[32:33], v36
	v_and_b32_e32 v15, 0xffff, v15
	v_lshl_or_b32 v14, v37, 16, v14
	v_cvt_pk_f32_bf8_e32 v[36:37], v15
	;;#ASMSTART
	v_pk_add_f32 v[32:33], v[32:33], v[36:37]
	;;#ASMEND
	v_mov_b32_e32 v15, 0
	v_cvt_pk_bf8_f32 v15, v32, v33
	v_cvt_pk_f32_bf8_e32 v[32:33], v47
	v_cvt_pk_f32_bf8_e32 v[36:37], v50
	;;#ASMSTART
	v_pk_add_f32 v[32:33], v[32:33], v[36:37]
	;;#ASMEND
	v_mov_b32_e32 v36, 0
	v_cvt_pk_bf8_f32 v36, v32, v33
	v_and_b32_e32 v15, 0xffff, v15
	v_lshrrev_b32_e32 v50, 16, v16
	v_cvt_pk_f32_bf8_e32 v[32:33], v46
	v_and_b32_e32 v16, 0xffff, v16
	v_lshl_or_b32 v15, v36, 16, v15
	v_cvt_pk_f32_bf8_e32 v[36:37], v16
	;;#ASMSTART
	v_pk_add_f32 v[32:33], v[32:33], v[36:37]
	;;#ASMEND
	v_mov_b32_e32 v16, 0
	v_cvt_pk_bf8_f32 v16, v32, v33
	v_cvt_pk_f32_bf8_e32 v[32:33], v28
	v_mov_b32_e32 v28, 0
	v_cvt_pk_f32_bf8_e32 v[36:37], v50
	;;#ASMSTART
	v_pk_add_f32 v[32:33], v[32:33], v[36:37]
	;;#ASMEND
	v_and_b32_e32 v16, 0xffff, v16
	v_cvt_pk_bf8_f32 v28, v32, v33
	v_lshrrev_b32_e32 v36, 16, v17
	v_and_b32_e32 v17, 0xffff, v17
	v_cvt_pk_f32_bf8_e32 v[32:33], v17
	v_lshl_or_b32 v16, v28, 16, v16
	v_cvt_pk_f32_bf8_e32 v[28:29], v29
	;;#ASMSTART
	v_pk_add_f32 v[28:29], v[28:29], v[32:33]
	;;#ASMEND
	v_mov_b32_e32 v17, 0
	v_cvt_pk_bf8_f32 v17, v28, v29
	v_cvt_pk_f32_bf8_e32 v[28:29], v42
	v_cvt_pk_f32_bf8_e32 v[32:33], v36
	;;#ASMSTART
	v_pk_add_f32 v[28:29], v[28:29], v[32:33]
	;;#ASMEND
	v_mov_b32_e32 v32, 0
	v_cvt_pk_bf8_f32 v32, v28, v29
	v_and_b32_e32 v17, 0xffff, v17
	s_waitcnt vmcnt(1)
	v_lshrrev_b32_e32 v36, 16, v18
	v_cvt_pk_f32_bf8_e32 v[28:29], v45
	v_and_b32_e32 v18, 0xffff, v18
	v_lshl_or_b32 v17, v32, 16, v17
	v_cvt_pk_f32_bf8_e32 v[32:33], v18
	;;#ASMSTART
	v_pk_add_f32 v[28:29], v[28:29], v[32:33]
	;;#ASMEND
	v_mov_b32_e32 v18, 0
	v_cvt_pk_bf8_f32 v18, v28, v29
	v_cvt_pk_f32_bf8_e32 v[28:29], v44
	v_cvt_pk_f32_bf8_e32 v[32:33], v36
	;;#ASMSTART
	v_pk_add_f32 v[28:29], v[28:29], v[32:33]
	;;#ASMEND
	v_mov_b32_e32 v32, 0
	v_cvt_pk_bf8_f32 v32, v28, v29
	v_and_b32_e32 v18, 0xffff, v18
	v_cvt_pk_f32_bf8_e32 v[28:29], v9
	v_and_b32_e32 v9, 0xffff, v19
	v_lshl_or_b32 v18, v32, 16, v18
	v_lshrrev_b32_e32 v36, 16, v19
	v_cvt_pk_f32_bf8_e32 v[32:33], v9
	;;#ASMSTART
	v_pk_add_f32 v[28:29], v[28:29], v[32:33]
	;;#ASMEND
	v_mov_b32_e32 v19, 0
	v_cvt_pk_bf8_f32 v19, v28, v29
	v_cvt_pk_f32_bf8_e32 v[8:9], v8
	v_cvt_pk_f32_bf8_e32 v[28:29], v36
	;;#ASMSTART
	v_pk_add_f32 v[8:9], v[8:9], v[28:29]
	;;#ASMEND
	v_mov_b32_e32 v28, 0
	v_cvt_pk_bf8_f32 v28, v8, v9
	v_and_b32_e32 v8, 0xffff, v19
	v_lshrrev_b32_e32 v32, 16, v20
	v_cvt_pk_f32_bf8_e32 v[50:51], v52
	v_lshl_or_b32 v19, v28, 16, v8
	v_cvt_pk_f32_bf8_e32 v[8:9], v7
	v_and_b32_e32 v7, 0xffff, v20
	v_cvt_pk_f32_bf8_e32 v[28:29], v7
	;;#ASMSTART
	v_pk_add_f32 v[8:9], v[8:9], v[28:29]
	;;#ASMEND
	v_mov_b32_e32 v20, 0
	v_cvt_pk_bf8_f32 v20, v8, v9
	v_cvt_pk_f32_bf8_e32 v[6:7], v6
	v_cvt_pk_f32_bf8_e32 v[8:9], v32
	;;#ASMSTART
	v_pk_add_f32 v[6:7], v[6:7], v[8:9]
	;;#ASMEND
	v_mov_b32_e32 v8, 0
	v_cvt_pk_bf8_f32 v8, v6, v7
	v_and_b32_e32 v6, 0xffff, v20
	v_lshrrev_b32_e32 v28, 16, v21
	v_lshl_or_b32 v20, v8, 16, v6
	v_cvt_pk_f32_bf8_e32 v[6:7], v5
	v_and_b32_e32 v5, 0xffff, v21
	v_cvt_pk_f32_bf8_e32 v[8:9], v5
	;;#ASMSTART
	v_pk_add_f32 v[6:7], v[6:7], v[8:9]
	;;#ASMEND
	v_mov_b32_e32 v8, 0
	v_cvt_pk_bf8_f32 v8, v6, v7
	v_cvt_pk_f32_bf8_e32 v[4:5], v4
	v_cvt_pk_f32_bf8_e32 v[6:7], v28
	;;#ASMSTART
	v_pk_add_f32 v[4:5], v[4:5], v[6:7]
	;;#ASMEND
	v_mov_b32_e32 v6, 0
	v_cvt_pk_bf8_f32 v6, v4, v5
	v_and_b32_e32 v4, 0xffff, v8
	s_waitcnt vmcnt(0)
	v_lshrrev_b32_e32 v8, 16, v22
	v_mov_b32_e32 v9, 0
	v_lshl_or_b32 v21, v6, 16, v4
	v_cvt_pk_f32_bf8_e32 v[4:5], v27
	v_and_b32_e32 v6, 0xffff, v22
	v_cvt_pk_f32_bf8_e32 v[6:7], v6
	;;#ASMSTART
	v_pk_add_f32 v[4:5], v[4:5], v[6:7]
	;;#ASMEND
	v_cvt_pk_f32_bf8_e32 v[6:7], v8
	v_cvt_pk_bf8_f32 v9, v4, v5
	v_cvt_pk_f32_bf8_e32 v[4:5], v26
	;;#ASMSTART
	v_pk_add_f32 v[4:5], v[4:5], v[6:7]
	;;#ASMEND
	v_mov_b32_e32 v6, 0
	v_cvt_pk_bf8_f32 v6, v4, v5
	v_and_b32_e32 v4, 0xffff, v9
	v_lshrrev_b32_e32 v8, 16, v23
	v_mov_b32_e32 v9, 0
	v_lshl_or_b32 v22, v6, 16, v4
	v_cvt_pk_f32_bf8_e32 v[4:5], v35
	v_and_b32_e32 v6, 0xffff, v23
	v_cvt_pk_f32_bf8_e32 v[6:7], v6
	;;#ASMSTART
	v_pk_add_f32 v[4:5], v[4:5], v[6:7]
	;;#ASMEND
	v_cvt_pk_f32_bf8_e32 v[6:7], v8
	v_cvt_pk_bf8_f32 v9, v4, v5
	v_cvt_pk_f32_bf8_e32 v[4:5], v34
	;;#ASMSTART
	v_pk_add_f32 v[4:5], v[4:5], v[6:7]
	;;#ASMEND
	v_mov_b32_e32 v6, 0
	v_cvt_pk_bf8_f32 v6, v4, v5
	v_and_b32_e32 v4, 0xffff, v9
	;; [unrolled: 18-line block ×3, first 2 shown]
	v_lshrrev_b32_e32 v28, 16, v25
	v_and_b32_e32 v25, 0xffff, v25
	v_lshl_or_b32 v24, v6, 16, v4
	v_cvt_pk_f32_bf8_e32 v[4:5], v25
	;;#ASMSTART
	v_pk_add_f32 v[6:7], v[50:51], v[4:5]
	;;#ASMEND
	v_mov_b32_e32 v4, 0
	v_cvt_pk_bf8_f32 v4, v6, v7
	v_mov_b32_e32 v5, 0
	v_cvt_pk_f32_bf8_e32 v[6:7], v49
	v_cvt_pk_f32_bf8_e32 v[8:9], v28
	;;#ASMSTART
	v_pk_add_f32 v[50:51], v[6:7], v[8:9]
	;;#ASMEND
	global_store_dwordx4 v[30:31], v[10:13], off nt
	global_store_dwordx4 v[30:31], v[14:17], off offset:1024 nt
	global_store_dwordx4 v[30:31], v[18:21], off offset:2048 nt
	v_cvt_pk_bf8_f32 v5, v50, v51
	v_accvgpr_read_b32 v6, a36
	v_accvgpr_read_b32 v18, a30
	v_and_b32_e32 v4, 0xffff, v4
	v_sub_u32_e32 v48, v48, v18
	v_accvgpr_read_b32 v7, a37
	v_lshl_or_b32 v25, v5, 16, v4
	v_cmp_gt_i32_e32 vcc, 1, v48
	v_accvgpr_read_b32 v19, a31
	global_store_dwordx4 v[30:31], v[22:25], off offset:3072 nt
	v_lshl_add_u64 v[0:1], v[0:1], 0, v[6:7]
	v_lshl_add_u64 v[2:3], v[2:3], 0, v[6:7]
	;; [unrolled: 1-line block ×3, first 2 shown]
	s_or_b64 s[36:37], vcc, s[36:37]
	s_andn2_b64 exec, exec, s[36:37]
	s_cbranch_execnz .LBB6_298
; %bb.299:                              ;   in Loop: Header=BB6_226 Depth=1
	s_or_b64 exec, exec, s[36:37]
	v_accvgpr_read_b32 v21, a7
	v_accvgpr_read_b32 v25, a9
	;; [unrolled: 1-line block ×32, first 2 shown]
	v_mov_b32_e32 v57, v62
.LBB6_300:                              ;   in Loop: Header=BB6_226 Depth=1
	s_or_b64 exec, exec, s[14:15]
	v_and_b32_e32 v1, 0x3ffff000, v32
	v_cmp_ne_u32_e32 vcc, v1, v32
	s_mov_b64 s[38:39], 0
	v_mov_b32_e32 v12, 0
                                        ; implicit-def: $vgpr3
                                        ; implicit-def: $vgpr2
                                        ; implicit-def: $vgpr0
	s_and_saveexec_b64 s[36:37], vcc
	s_cbranch_execz .LBB6_308
; %bb.301:                              ;   in Loop: Header=BB6_226 Depth=1
	v_lshlrev_b32_e32 v0, 6, v48
	v_accvgpr_read_b32 v3, a32
	v_sub_u32_e32 v0, v3, v0
	v_ashrrev_i32_e32 v3, 31, v0
	v_lshrrev_b32_e32 v3, 26, v3
	v_add_u32_e32 v3, v0, v3
	v_ashrrev_i32_e32 v5, 6, v3
	v_and_b32_e32 v3, 0xffffffc0, v3
	v_and_b32_e32 v2, 0xfff, v32
	v_sub_u32_e32 v4, v0, v3
	v_and_b32_e32 v6, 0xc00, v32
	v_lshlrev_b32_e32 v0, 4, v4
	v_sub_u32_e32 v6, v2, v6
	v_lshl_add_u32 v0, v5, 10, v0
	v_bfe_u32 v3, v32, 10, 2
	v_cmp_lt_i32_e32 vcc, 15, v6
	v_sub_u32_e32 v7, v2, v0
	s_nop 0
	v_addc_co_u32_e64 v2, s[14:15], 0, v3, vcc
	v_sub_u32_e32 v5, v2, v5
	v_cmp_lt_i32_e64 s[14:15], 15, v7
	s_and_saveexec_b64 s[38:39], s[14:15]
	s_cbranch_execz .LBB6_305
; %bb.302:                              ;   in Loop: Header=BB6_226 Depth=1
	s_trap 2
	ds_read_b128 v[8:11], v0
	ds_read_b64 v[12:13], v0
	v_accvgpr_write_b32 a27, v15
	v_accvgpr_write_b32 a26, v14
	v_add_u32_e32 v14, v0, v1
	v_accvgpr_write_b32 a42, v52
	v_accvgpr_write_b32 a24, v38
	;; [unrolled: 1-line block ×3, first 2 shown]
	v_ashrrev_i32_e32 v15, 31, v14
	v_accvgpr_write_b32 a49, v19
	v_accvgpr_write_b32 a10, v4
	v_accvgpr_write_b32 a46, v32
	v_accvgpr_write_b32 a45, v40
	v_accvgpr_write_b32 a44, v54
	v_accvgpr_write_b32 a43, v53
	v_accvgpr_write_b32 a5, v33
	v_accvgpr_write_b32 a25, v39
	v_accvgpr_write_b32 a15, v27
	v_accvgpr_write_b32 a16, v28
	v_accvgpr_write_b32 a17, v29
	v_accvgpr_write_b32 a4, v56
	v_accvgpr_write_b32 a3, v61
	v_accvgpr_write_b32 a0, v57
	s_waitcnt lgkmcnt(0)
	v_lshl_add_u64 v[0:1], v[8:9], 0, v[14:15]
	v_lshl_add_u64 v[2:3], v[10:11], 0, v[14:15]
	v_accvgpr_write_b32 a48, v18
	s_waitcnt lgkmcnt(0)
	v_lshl_add_u64 v[18:19], v[12:13], 0, v[14:15]
	s_mov_b64 s[40:41], 0
	v_mov_b32_e32 v4, v49
.LBB6_303:                              ;   Parent Loop BB6_226 Depth=1
                                        ; =>  This Inner Loop Header: Depth=2
	s_trap 2
	global_load_dwordx4 v[10:13], v[0:1], off nt
	global_load_dwordx4 v[14:17], v[2:3], off nt
	ds_read_b32 v39, v0
	v_mov_b32_e32 v28, 0
	v_mov_b32_e32 v29, 0
	;; [unrolled: 1-line block ×21, first 2 shown]
	v_sub_u32_e32 v7, v7, v4
	s_waitcnt vmcnt(0)
	v_and_b32_e32 v48, 0xff, v10
	s_waitcnt vmcnt(0)
	v_lshrrev_b32_e32 v38, 16, v17
	v_and_b32_e32 v56, 0xffff, v17
	s_waitcnt lgkmcnt(0)
	v_and_b32_e32 v17, 0xff, v39
	v_bfe_u32 v49, v10, 8, 8
	v_lshrrev_b32_e32 v50, 24, v10
	v_bfe_u32 v51, v10, 16, 8
	v_and_b32_e32 v52, 0xff, v11
	v_bfe_u32 v53, v11, 8, 8
	v_lshrrev_b32_e32 v54, 24, v11
	v_bfe_u32 v55, v11, 16, 8
	;; [unrolled: 4-line block ×4, first 2 shown]
	v_cvt_f32_bf8_sdwa v17, v17 src0_sel:BYTE_0
	v_cvt_f32_bf8_sdwa v39, v48 src0_sel:BYTE_0
	;; [unrolled: 1-line block ×17, first 2 shown]
	v_mul_f32_e32 v39, v17, v39
	v_mul_f32_e32 v48, v17, v48
	;; [unrolled: 1-line block ×16, first 2 shown]
	v_med3_f32 v46, v39, s61, v60
	v_cmp_nlg_f32_e64 s[14:15], |v39|, s59
	v_lshrrev_b32_e32 v13, 16, v14
	v_and_b32_e32 v36, 0xffff, v14
	v_cndmask_b32_e64 v39, v46, v39, s[14:15]
	v_med3_f32 v46, v48, s61, v60
	v_cmp_nlg_f32_e64 s[14:15], |v48|, s59
	v_cvt_pk_bf8_f32 v20, v39, v39
	v_lshrrev_b32_e32 v14, 16, v15
	v_cndmask_b32_e64 v48, v46, v48, s[14:15]
	v_med3_f32 v46, v49, s61, v60
	v_cmp_nlg_f32_e64 s[14:15], |v49|, s59
	v_cvt_pk_bf8_f32 v28, v48, v48
	v_and_b32_e32 v15, 0xffff, v15
	v_cndmask_b32_e64 v49, v46, v49, s[14:15]
	v_med3_f32 v46, v50, s61, v60
	v_cmp_nlg_f32_e64 s[14:15], |v50|, s59
	v_cvt_pk_bf8_f32 v22, v49, v49
	v_lshrrev_b32_e32 v37, 16, v16
	v_cndmask_b32_e64 v50, v46, v50, s[14:15]
	v_med3_f32 v46, v51, s61, v60
	v_cmp_nlg_f32_e64 s[14:15], |v51|, s59
	v_cvt_pk_bf8_f32 v29, v50, v50
	v_and_b32_e32 v16, 0xffff, v16
	v_cndmask_b32_e64 v46, v46, v51, s[14:15]
	v_med3_f32 v51, v52, s61, v60
	v_cmp_nlg_f32_e64 s[14:15], |v52|, s59
	v_cvt_pk_bf8_f32 v21, v46, v46
	v_mov_b32_e32 v11, 0
	v_cndmask_b32_e64 v47, v51, v52, s[14:15]
	v_med3_f32 v51, v53, s61, v60
	v_cmp_nlg_f32_e64 s[14:15], |v53|, s59
	v_cvt_pk_bf8_f32 v30, v47, v47
	v_mov_b32_e32 v12, 0
	v_cndmask_b32_e64 v57, v51, v53, s[14:15]
	scratch_load_dwordx2 v[52:53], off, s33 offset:188 ; 8-byte Folded Reload
	v_med3_f32 v51, v54, s61, v60
	v_cmp_nlg_f32_e64 s[14:15], |v54|, s59
	v_cvt_pk_bf8_f32 v24, v57, v57
	v_mov_b32_e32 v10, 0
	v_cndmask_b32_e64 v54, v51, v54, s[14:15]
	v_med3_f32 v51, v55, s61, v60
	v_cmp_nlg_f32_e64 s[14:15], |v55|, s59
	v_cvt_pk_bf8_f32 v31, v54, v54
	v_cvt_pk_f32_bf8_e32 v[48:49], v36
	v_cndmask_b32_e64 v55, v51, v55, s[14:15]
	v_med3_f32 v51, v40, s61, v60
	v_cmp_nlg_f32_e64 s[14:15], |v40|, s59
	v_cvt_pk_bf8_f32 v23, v55, v55
	v_cvt_pk_f32_bf8_e32 v[36:37], v37
	v_cndmask_b32_e64 v40, v51, v40, s[14:15]
	v_med3_f32 v51, v41, s61, v60
	v_cmp_nlg_f32_e64 s[14:15], |v41|, s59
	v_cvt_pk_bf8_f32 v32, v40, v40
	v_cvt_pk_f32_bf8_e32 v[54:55], v56
	v_cndmask_b32_e64 v41, v51, v41, s[14:15]
	v_med3_f32 v51, v42, s61, v60
	v_cmp_nlg_f32_e64 s[14:15], |v42|, s59
	v_cvt_pk_bf8_f32 v26, v41, v41
	v_cvt_pk_f32_bf8_e32 v[38:39], v38
	v_cndmask_b32_e64 v42, v51, v42, s[14:15]
	v_med3_f32 v51, v43, s61, v60
	v_cmp_nlg_f32_e64 s[14:15], |v43|, s59
	v_cvt_pk_bf8_f32 v33, v42, v42
	s_waitcnt vmcnt(0)
	v_lshl_add_u64 v[0:1], v[0:1], 0, v[52:53]
	scratch_load_dwordx2 v[52:53], off, s33 offset:188 ; 8-byte Folded Reload
	v_cndmask_b32_e64 v43, v51, v43, s[14:15]
	v_med3_f32 v51, v44, s61, v60
	v_cmp_nlg_f32_e64 s[14:15], |v44|, s59
	v_cvt_pk_bf8_f32 v25, v43, v43
	s_waitcnt vmcnt(0)
	v_lshl_add_u64 v[2:3], v[2:3], 0, v[52:53]
	v_cndmask_b32_e64 v44, v51, v44, s[14:15]
	v_med3_f32 v51, v45, s61, v60
	v_cmp_nlg_f32_e64 s[14:15], |v45|, s59
	v_cvt_pk_bf8_f32 v34, v44, v44
	v_accvgpr_read_b32 v53, a49
	v_cndmask_b32_e64 v45, v51, v45, s[14:15]
	v_med3_f32 v51, v17, s61, v60
	v_cmp_nlg_f32_e64 s[14:15], |v17|, s59
	v_cvt_pk_bf8_f32 v27, v45, v45
	v_accvgpr_read_b32 v52, a48
	v_cndmask_b32_e64 v58, v51, v17, s[14:15]
	v_cvt_pk_bf8_f32 v35, v58, v58
	v_cvt_pk_f32_bf8_e32 v[50:51], v13
	v_lshlrev_b32_e32 v13, 8, v28
	v_lshlrev_b32_e32 v28, 8, v29
	;; [unrolled: 1-line block ×8, first 2 shown]
	v_perm_b32 v22, v28, v22, s62
	v_perm_b32 v13, v13, v20, s62
	;; [unrolled: 1-line block ×5, first 2 shown]
	v_sub_u32_e32 v5, v5, v52
	v_cvt_pk_f32_bf8_e32 v[52:53], v15
	v_cvt_pk_f32_bf8_e32 v[14:15], v14
	v_cvt_pk_f32_bf8_e32 v[16:17], v16
	v_perm_b32 v30, v32, v26, s62
	v_perm_b32 v34, v34, v27, s62
	;; [unrolled: 1-line block ×3, first 2 shown]
	v_cvt_pk_f32_bf8_e32 v[20:21], v13
	v_cvt_pk_f32_bf8_e32 v[22:23], v22
	;; [unrolled: 1-line block ×7, first 2 shown]
	;;#ASMSTART
	v_pk_add_f32 v[20:21], v[20:21], v[48:49]
	;;#ASMEND
	;;#ASMSTART
	v_pk_add_f32 v[22:23], v[22:23], v[50:51]
	;;#ASMEND
	;; [unrolled: 3-line block ×7, first 2 shown]
	v_cvt_pk_f32_bf8_e32 v[34:35], v34
	v_cvt_pk_bf8_f32 v8, v20, v21
	v_cvt_pk_bf8_f32 v11, v24, v25
	;; [unrolled: 1-line block ×4, first 2 shown]
	;;#ASMSTART
	v_pk_add_f32 v[30:31], v[34:35], v[38:39]
	;;#ASMEND
	v_cvt_pk_bf8_f32 v9, v22, v23
	v_cvt_pk_bf8_f32 v10, v14, v15
	;; [unrolled: 1-line block ×4, first 2 shown]
	v_and_b32_e32 v8, 0xffff, v8
	v_and_b32_e32 v11, 0xffff, v11
	;; [unrolled: 1-line block ×4, first 2 shown]
	v_lshl_or_b32 v8, v9, 16, v8
	v_lshl_or_b32 v9, v10, 16, v11
	;; [unrolled: 1-line block ×4, first 2 shown]
	global_store_dwordx4 v[18:19], v[8:11], off nt
	scratch_load_dwordx2 v[8:9], off, s33 offset:188 ; 8-byte Folded Reload
	v_cmp_gt_i32_e64 s[14:15], 16, v7
	s_or_b64 s[40:41], s[14:15], s[40:41]
	s_waitcnt vmcnt(0)
	v_lshl_add_u64 v[18:19], v[18:19], 0, v[8:9]
	s_andn2_b64 exec, exec, s[40:41]
	s_cbranch_execnz .LBB6_303
; %bb.304:                              ;   in Loop: Header=BB6_226 Depth=1
	s_or_b64 exec, exec, s[40:41]
	v_accvgpr_read_b32 v21, a7
	v_accvgpr_read_b32 v25, a9
	;; [unrolled: 1-line block ×30, first 2 shown]
	v_mov_b32_e32 v49, v4
	v_accvgpr_read_b32 v50, a40
	v_accvgpr_read_b32 v52, a42
	;; [unrolled: 1-line block ×6, first 2 shown]
.LBB6_305:                              ;   in Loop: Header=BB6_226 Depth=1
	s_or_b64 exec, exec, s[38:39]
	v_and_b32_e32 v1, 15, v32
	v_cndmask_b32_e32 v3, v6, v1, vcc
	v_cmp_ne_u32_e64 s[14:15], 0, v3
	s_mov_b64 s[38:39], 0
	v_mov_b32_e32 v12, 0
                                        ; implicit-def: $vgpr2
                                        ; implicit-def: $vgpr0
	s_and_saveexec_b64 s[40:41], s[14:15]
	s_cbranch_execz .LBB6_307
; %bb.306:                              ;   in Loop: Header=BB6_226 Depth=1
	v_sub_u32_e32 v1, v6, v1
	v_and_b32_e32 v0, 0x3ffffc00, v32
	v_cndmask_b32_e32 v1, 0, v1, vcc
	v_cmp_lt_i32_e32 vcc, 0, v5
	v_add_u32_e32 v12, v1, v0
	s_mov_b64 s[38:39], exec
	v_cndmask_b32_e32 v0, 0, v18, vcc
	v_sub_u32_e32 v0, v0, v5
	v_lshl_add_u32 v2, v0, 6, v4
	v_ashrrev_i32_e32 v0, 31, v2
	v_lshrrev_b32_e32 v0, 26, v0
	v_add_u32_e32 v0, v2, v0
	v_ashrrev_i32_e32 v0, 6, v0
.LBB6_307:                              ;   in Loop: Header=BB6_226 Depth=1
	s_or_b64 exec, exec, s[40:41]
	s_and_b64 s[38:39], s[38:39], exec
.LBB6_308:                              ;   in Loop: Header=BB6_226 Depth=1
	s_or_b64 exec, exec, s[36:37]
	s_and_saveexec_b64 s[14:15], s[38:39]
	s_cbranch_execz .LBB6_317
.LBB6_309:                              ;   in Loop: Header=BB6_226 Depth=1
	v_ashrrev_i32_e32 v1, 31, v3
	v_lshrrev_b32_e32 v1, 21, v1
	v_add_u32_e32 v1, v3, v1
	v_ashrrev_i32_e32 v4, 11, v1
	v_sub_u32_e32 v48, v4, v0
	v_ashrrev_i32_e32 v1, 31, v2
	v_cmp_lt_i32_e32 vcc, 0, v48
	v_lshrrev_b32_e32 v1, 26, v1
	s_and_saveexec_b64 s[36:37], vcc
	s_cbranch_execz .LBB6_313
; %bb.310:                              ;   in Loop: Header=BB6_226 Depth=1
	v_accvgpr_write_b32 a50, v1
	v_add_u32_e32 v1, v2, v1
	v_and_b32_e32 v1, 0xffffffc0, v1
	v_accvgpr_write_b32 a51, v4
	v_accvgpr_write_b32 a48, v3
	s_trap 2
	v_accvgpr_write_b32 a49, v2
	v_sub_u32_e32 v1, v2, v1
	ds_read_b128 v[2:5], v0
	v_lshlrev_b32_e32 v0, 11, v0
	ds_read_b64 v[6:7], v0
	v_add3_u32 v8, v12, v1, v0
	v_ashrrev_i32_e32 v9, 31, v8
	v_accvgpr_write_b32 a42, v52
	v_accvgpr_write_b32 a27, v15
	;; [unrolled: 1-line block ×4, first 2 shown]
	s_waitcnt lgkmcnt(0)
	v_lshl_add_u64 v[0:1], v[2:3], 0, v[8:9]
	v_lshl_add_u64 v[2:3], v[4:5], 0, v[8:9]
	s_waitcnt lgkmcnt(0)
	v_lshl_add_u64 v[4:5], v[6:7], 0, s[28:29]
	v_accvgpr_write_b32 a46, v32
	v_accvgpr_write_b32 a45, v40
	;; [unrolled: 1-line block ×14, first 2 shown]
	v_lshl_add_u64 v[10:11], v[4:5], 0, v[8:9]
	s_mov_b64 s[38:39], 0
.LBB6_311:                              ;   Parent Loop BB6_226 Depth=1
                                        ; =>  This Inner Loop Header: Depth=2
	s_trap 2
	ds_read_b32 v4, v0
	v_mov_b32_e32 v12, 0
	v_mov_b32_e32 v34, 0
	;; [unrolled: 1-line block ×4, first 2 shown]
	s_waitcnt lgkmcnt(0)
	v_and_b32_e32 v4, 0xff, v4
	v_cvt_f32_bf8_sdwa v13, v4 src0_sel:BYTE_0
	flat_load_ubyte v4, v[0:1] nt
	v_mov_b32_e32 v9, 0
	v_mov_b32_e32 v44, 0
	;; [unrolled: 1-line block ×20, first 2 shown]
	s_waitcnt vmcnt(0) lgkmcnt(0)
	v_cvt_f32_bf8_sdwa v4, v4 src0_sel:BYTE_0
	s_nop 0
	v_mul_f32_e32 v4, v13, v4
	v_cmp_nlg_f32_e64 vcc, |v4|, s59
	v_med3_f32 v5, v4, s61, v60
	s_nop 0
	v_cndmask_b32_e32 v4, v5, v4, vcc
	v_cvt_pk_bf8_f32 v12, v4, v4
	flat_load_ubyte v4, v[0:1] offset:64 nt
	v_and_b32_e32 v12, 0xff, v12
	s_waitcnt vmcnt(0) lgkmcnt(0)
	v_cvt_f32_bf8_sdwa v4, v4 src0_sel:BYTE_0
	s_nop 0
	v_mul_f32_e32 v4, v13, v4
	v_cmp_nlg_f32_e64 vcc, |v4|, s59
	v_med3_f32 v5, v4, s61, v60
	s_nop 0
	v_cndmask_b32_e32 v4, v5, v4, vcc
	v_cvt_pk_bf8_f32 v34, v4, v4
	flat_load_ubyte v4, v[0:1] offset:128 nt
	s_waitcnt vmcnt(0) lgkmcnt(0)
	v_cvt_f32_bf8_sdwa v4, v4 src0_sel:BYTE_0
	s_nop 0
	v_mul_f32_e32 v4, v13, v4
	v_cmp_nlg_f32_e64 vcc, |v4|, s59
	v_med3_f32 v5, v4, s61, v60
	s_nop 0
	v_cndmask_b32_e32 v4, v5, v4, vcc
	v_cvt_pk_bf8_f32 v18, v4, v4
	flat_load_ubyte v4, v[0:1] offset:192 nt
	v_and_b32_e32 v18, 0xff, v18
	s_waitcnt vmcnt(0) lgkmcnt(0)
	v_cvt_f32_bf8_sdwa v4, v4 src0_sel:BYTE_0
	s_nop 0
	v_mul_f32_e32 v4, v13, v4
	v_cmp_nlg_f32_e64 vcc, |v4|, s59
	v_med3_f32 v5, v4, s61, v60
	s_nop 0
	v_cndmask_b32_e32 v4, v5, v4, vcc
	v_mov_b32_e32 v5, 0
	v_cvt_pk_bf8_f32 v5, v4, v4
	flat_load_ubyte v4, v[0:1] offset:256 nt
	v_and_b32_e32 v5, 0xff, v5
	s_waitcnt vmcnt(0) lgkmcnt(0)
	v_cvt_f32_bf8_sdwa v4, v4 src0_sel:BYTE_0
	s_nop 0
	v_mul_f32_e32 v4, v13, v4
	v_cmp_nlg_f32_e64 vcc, |v4|, s59
	v_med3_f32 v6, v4, s61, v60
	s_nop 0
	v_cndmask_b32_e32 v4, v6, v4, vcc
	v_cvt_pk_bf8_f32 v7, v4, v4
	flat_load_ubyte v4, v[0:1] offset:320 nt
	v_and_b32_e32 v7, 0xff, v7
	s_waitcnt vmcnt(0) lgkmcnt(0)
	v_cvt_f32_bf8_sdwa v4, v4 src0_sel:BYTE_0
	s_nop 0
	v_mul_f32_e32 v4, v13, v4
	v_cmp_nlg_f32_e64 vcc, |v4|, s59
	v_med3_f32 v6, v4, s61, v60
	s_nop 0
	v_cndmask_b32_e32 v4, v6, v4, vcc
	;; [unrolled: 11-line block ×3, first 2 shown]
	v_cvt_pk_bf8_f32 v44, v4, v4
	flat_load_ubyte v4, v[0:1] offset:448 nt
	s_waitcnt vmcnt(0) lgkmcnt(0)
	v_cvt_f32_bf8_sdwa v4, v4 src0_sel:BYTE_0
	s_nop 0
	v_mul_f32_e32 v4, v13, v4
	v_cmp_nlg_f32_e64 vcc, |v4|, s59
	v_med3_f32 v6, v4, s61, v60
	s_nop 0
	v_cndmask_b32_e32 v4, v6, v4, vcc
	v_cvt_pk_bf8_f32 v8, v4, v4
	flat_load_ubyte v4, v[0:1] offset:512 nt
	v_and_b32_e32 v8, 0xff, v8
	s_waitcnt vmcnt(0) lgkmcnt(0)
	v_cvt_f32_bf8_sdwa v4, v4 src0_sel:BYTE_0
	s_nop 0
	v_mul_f32_e32 v4, v13, v4
	v_cmp_nlg_f32_e64 vcc, |v4|, s59
	v_med3_f32 v6, v4, s61, v60
	s_nop 0
	v_cndmask_b32_e32 v6, v6, v4, vcc
	v_mov_b32_e32 v4, 0
	v_cvt_pk_bf8_f32 v4, v6, v6
	flat_load_ubyte v6, v[0:1] offset:576 nt
	v_and_b32_e32 v4, 0xff, v4
	s_waitcnt vmcnt(0) lgkmcnt(0)
	v_cvt_f32_bf8_sdwa v6, v6 src0_sel:BYTE_0
	s_nop 0
	v_mul_f32_e32 v6, v13, v6
	v_cmp_nlg_f32_e64 vcc, |v6|, s59
	v_med3_f32 v14, v6, s61, v60
	s_nop 0
	v_cndmask_b32_e32 v6, v14, v6, vcc
	v_cvt_pk_bf8_f32 v59, v6, v6
	flat_load_ubyte v6, v[0:1] offset:640 nt
	s_waitcnt vmcnt(0) lgkmcnt(0)
	v_cvt_f32_bf8_sdwa v6, v6 src0_sel:BYTE_0
	s_nop 0
	v_mul_f32_e32 v6, v13, v6
	v_cmp_nlg_f32_e64 vcc, |v6|, s59
	v_med3_f32 v14, v6, s61, v60
	s_nop 0
	v_cndmask_b32_e32 v6, v14, v6, vcc
	v_cvt_pk_bf8_f32 v47, v6, v6
	flat_load_ubyte v6, v[0:1] offset:704 nt
	s_waitcnt vmcnt(0) lgkmcnt(0)
	v_cvt_f32_bf8_sdwa v6, v6 src0_sel:BYTE_0
	s_nop 0
	v_mul_f32_e32 v6, v13, v6
	v_cmp_nlg_f32_e64 vcc, |v6|, s59
	v_med3_f32 v14, v6, s61, v60
	s_nop 0
	v_cndmask_b32_e32 v6, v14, v6, vcc
	v_cvt_pk_bf8_f32 v43, v6, v6
	flat_load_ubyte v6, v[0:1] offset:768 nt
	s_waitcnt vmcnt(0) lgkmcnt(0)
	v_cvt_f32_bf8_sdwa v6, v6 src0_sel:BYTE_0
	s_nop 0
	v_mul_f32_e32 v6, v13, v6
	v_cmp_nlg_f32_e64 vcc, |v6|, s59
	v_med3_f32 v14, v6, s61, v60
	s_nop 0
	v_cndmask_b32_e32 v6, v14, v6, vcc
	v_cvt_pk_bf8_f32 v37, v6, v6
	flat_load_ubyte v6, v[0:1] offset:832 nt
	s_waitcnt vmcnt(0) lgkmcnt(0)
	v_cvt_f32_bf8_sdwa v6, v6 src0_sel:BYTE_0
	s_nop 0
	v_mul_f32_e32 v6, v13, v6
	v_cmp_nlg_f32_e64 vcc, |v6|, s59
	v_med3_f32 v14, v6, s61, v60
	s_nop 0
	v_cndmask_b32_e32 v6, v14, v6, vcc
	v_cvt_pk_bf8_f32 v36, v6, v6
	flat_load_ubyte v6, v[0:1] offset:896 nt
	s_waitcnt vmcnt(0) lgkmcnt(0)
	v_cvt_f32_bf8_sdwa v6, v6 src0_sel:BYTE_0
	s_nop 0
	v_mul_f32_e32 v6, v13, v6
	v_cmp_nlg_f32_e64 vcc, |v6|, s59
	v_med3_f32 v14, v6, s61, v60
	s_nop 0
	v_cndmask_b32_e32 v6, v14, v6, vcc
	v_cvt_pk_bf8_f32 v29, v6, v6
	flat_load_ubyte v6, v[0:1] offset:960 nt
	s_waitcnt vmcnt(0) lgkmcnt(0)
	v_cvt_f32_bf8_sdwa v6, v6 src0_sel:BYTE_0
	s_nop 0
	v_mul_f32_e32 v6, v13, v6
	v_cmp_nlg_f32_e64 vcc, |v6|, s59
	v_med3_f32 v14, v6, s61, v60
	s_nop 0
	v_cndmask_b32_e32 v6, v14, v6, vcc
	v_cvt_pk_bf8_f32 v28, v6, v6
	flat_load_ubyte v6, v[0:1] offset:1024 nt
	s_waitcnt vmcnt(0) lgkmcnt(0)
	v_cvt_f32_bf8_sdwa v6, v6 src0_sel:BYTE_0
	s_nop 0
	v_mul_f32_e32 v6, v13, v6
	v_cmp_nlg_f32_e64 vcc, |v6|, s59
	v_med3_f32 v14, v6, s61, v60
	s_nop 0
	v_cndmask_b32_e32 v6, v14, v6, vcc
	v_cvt_pk_bf8_f32 v55, v6, v6
	flat_load_ubyte v6, v[0:1] offset:1088 nt
	s_waitcnt vmcnt(0) lgkmcnt(0)
	v_cvt_f32_bf8_sdwa v6, v6 src0_sel:BYTE_0
	s_nop 0
	v_mul_f32_e32 v6, v13, v6
	v_cmp_nlg_f32_e64 vcc, |v6|, s59
	v_med3_f32 v14, v6, s61, v60
	s_nop 0
	v_cndmask_b32_e32 v6, v14, v6, vcc
	v_cvt_pk_bf8_f32 v54, v6, v6
	flat_load_ubyte v6, v[0:1] offset:1152 nt
	s_waitcnt vmcnt(0) lgkmcnt(0)
	v_cvt_f32_bf8_sdwa v6, v6 src0_sel:BYTE_0
	s_nop 0
	v_mul_f32_e32 v6, v13, v6
	v_cmp_nlg_f32_e64 vcc, |v6|, s59
	v_med3_f32 v14, v6, s61, v60
	s_nop 0
	v_cndmask_b32_e32 v6, v14, v6, vcc
	v_cvt_pk_bf8_f32 v51, v6, v6
	flat_load_ubyte v6, v[0:1] offset:1216 nt
	s_waitcnt vmcnt(0) lgkmcnt(0)
	v_cvt_f32_bf8_sdwa v6, v6 src0_sel:BYTE_0
	s_nop 0
	v_mul_f32_e32 v6, v13, v6
	v_cmp_nlg_f32_e64 vcc, |v6|, s59
	v_med3_f32 v14, v6, s61, v60
	s_nop 0
	v_cndmask_b32_e32 v6, v14, v6, vcc
	v_cvt_pk_bf8_f32 v50, v6, v6
	flat_load_ubyte v6, v[0:1] offset:1280 nt
	s_waitcnt vmcnt(0) lgkmcnt(0)
	v_cvt_f32_bf8_sdwa v6, v6 src0_sel:BYTE_0
	s_nop 0
	v_mul_f32_e32 v6, v13, v6
	v_cmp_nlg_f32_e64 vcc, |v6|, s59
	v_med3_f32 v14, v6, s61, v60
	s_nop 0
	v_cndmask_b32_e32 v6, v14, v6, vcc
	v_cvt_pk_bf8_f32 v49, v6, v6
	flat_load_ubyte v6, v[0:1] offset:1344 nt
	s_waitcnt vmcnt(0) lgkmcnt(0)
	v_cvt_f32_bf8_sdwa v6, v6 src0_sel:BYTE_0
	s_nop 0
	v_mul_f32_e32 v6, v13, v6
	v_cmp_nlg_f32_e64 vcc, |v6|, s59
	v_med3_f32 v14, v6, s61, v60
	s_nop 0
	v_cndmask_b32_e32 v6, v14, v6, vcc
	v_cvt_pk_bf8_f32 v33, v6, v6
	flat_load_ubyte v6, v[0:1] offset:1408 nt
	s_waitcnt vmcnt(0) lgkmcnt(0)
	v_cvt_f32_bf8_sdwa v6, v6 src0_sel:BYTE_0
	s_nop 0
	v_mul_f32_e32 v6, v13, v6
	v_cmp_nlg_f32_e64 vcc, |v6|, s59
	v_med3_f32 v14, v6, s61, v60
	s_nop 0
	v_cndmask_b32_e32 v6, v14, v6, vcc
	v_cvt_pk_bf8_f32 v32, v6, v6
	flat_load_ubyte v6, v[0:1] offset:1472 nt
	s_waitcnt vmcnt(0) lgkmcnt(0)
	v_cvt_f32_bf8_sdwa v6, v6 src0_sel:BYTE_0
	s_nop 0
	v_mul_f32_e32 v6, v13, v6
	v_cmp_nlg_f32_e64 vcc, |v6|, s59
	v_med3_f32 v14, v6, s61, v60
	s_nop 0
	v_cndmask_b32_e32 v14, v14, v6, vcc
	v_mov_b32_e32 v6, 0
	v_cvt_pk_bf8_f32 v6, v14, v14
	flat_load_ubyte v14, v[0:1] offset:1536 nt
	v_and_b32_e32 v6, 0xff, v6
	s_waitcnt vmcnt(0) lgkmcnt(0)
	v_cvt_f32_bf8_sdwa v14, v14 src0_sel:BYTE_0
	s_nop 0
	v_mul_f32_e32 v14, v13, v14
	v_cmp_nlg_f32_e64 vcc, |v14|, s59
	v_med3_f32 v15, v14, s61, v60
	s_nop 0
	v_cndmask_b32_e32 v15, v15, v14, vcc
	v_mov_b32_e32 v14, 0
	v_cvt_pk_bf8_f32 v14, v15, v15
	flat_load_ubyte v15, v[0:1] offset:1600 nt
	s_waitcnt vmcnt(0) lgkmcnt(0)
	v_cvt_f32_bf8_sdwa v15, v15 src0_sel:BYTE_0
	s_nop 0
	v_mul_f32_e32 v15, v13, v15
	v_cmp_nlg_f32_e64 vcc, |v15|, s59
	v_med3_f32 v16, v15, s61, v60
	s_nop 0
	v_cndmask_b32_e32 v15, v16, v15, vcc
	v_cvt_pk_bf8_f32 v19, v15, v15
	flat_load_ubyte v15, v[0:1] offset:1664 nt
	s_waitcnt vmcnt(0) lgkmcnt(0)
	v_cvt_f32_bf8_sdwa v15, v15 src0_sel:BYTE_0
	s_nop 0
	v_mul_f32_e32 v15, v13, v15
	v_cmp_nlg_f32_e64 vcc, |v15|, s59
	v_med3_f32 v16, v15, s61, v60
	s_nop 0
	v_cndmask_b32_e32 v15, v16, v15, vcc
	;; [unrolled: 10-line block ×3, first 2 shown]
	v_mov_b32_e32 v16, 0
	v_cvt_pk_bf8_f32 v16, v15, v15
	flat_load_ubyte v15, v[0:1] offset:1792 nt
	v_accvgpr_write_b32 a55, v16
	s_waitcnt vmcnt(0) lgkmcnt(0)
	v_cvt_f32_bf8_sdwa v15, v15 src0_sel:BYTE_0
	s_nop 0
	v_mul_f32_e32 v15, v13, v15
	v_cmp_nlg_f32_e64 vcc, |v15|, s59
	v_med3_f32 v16, v15, s61, v60
	s_nop 0
	v_cndmask_b32_e32 v15, v16, v15, vcc
	v_cvt_pk_bf8_f32 v22, v15, v15
	flat_load_ubyte v15, v[0:1] offset:1856 nt
	s_waitcnt vmcnt(0) lgkmcnt(0)
	v_cvt_f32_bf8_sdwa v15, v15 src0_sel:BYTE_0
	s_nop 0
	v_mul_f32_e32 v15, v13, v15
	v_cmp_nlg_f32_e64 vcc, |v15|, s59
	v_med3_f32 v16, v15, s61, v60
	s_nop 0
	v_cndmask_b32_e32 v15, v16, v15, vcc
	v_mov_b32_e32 v16, 0
	v_cvt_pk_bf8_f32 v16, v15, v15
	flat_load_ubyte v15, v[0:1] offset:1920 nt
	v_accvgpr_write_b32 a54, v16
	s_waitcnt vmcnt(0) lgkmcnt(0)
	v_cvt_f32_bf8_sdwa v15, v15 src0_sel:BYTE_0
	s_nop 0
	v_mul_f32_e32 v15, v13, v15
	v_cmp_nlg_f32_e64 vcc, |v15|, s59
	v_med3_f32 v16, v15, s61, v60
	s_nop 0
	v_cndmask_b32_e32 v15, v16, v15, vcc
	v_mov_b32_e32 v16, 0
	v_cvt_pk_bf8_f32 v16, v15, v15
	flat_load_ubyte v15, v[0:1] offset:1984 nt
	v_accvgpr_write_b32 a53, v16
	s_waitcnt vmcnt(0) lgkmcnt(0)
	v_cvt_f32_bf8_sdwa v15, v15 src0_sel:BYTE_0
	s_nop 0
	v_mul_f32_e32 v13, v13, v15
	v_cmp_nlg_f32_e64 vcc, |v13|, s59
	v_med3_f32 v15, v13, s61, v60
	s_nop 0
	v_cndmask_b32_e32 v13, v15, v13, vcc
	v_mov_b32_e32 v15, 0
	v_cvt_pk_bf8_f32 v15, v13, v13
	v_cvt_pk_f32_bf8_e32 v[12:13], v12
	v_accvgpr_write_b32 a52, v15
	flat_load_ubyte v31, v[2:3] nt
	flat_load_ubyte v30, v[2:3] offset:64 nt
	flat_load_ubyte v24, v[2:3] offset:128 nt
	;; [unrolled: 1-line block ×31, first 2 shown]
	s_waitcnt vmcnt(0) lgkmcnt(0)
	v_cvt_pk_f32_bf8_e32 v[20:21], v31
	;;#ASMSTART
	v_pk_add_f32 v[12:13], v[12:13], v[20:21]
	;;#ASMEND
	v_cvt_pk_f32_bf8_e32 v[30:31], v30
	v_mov_b32_e32 v13, 0
	v_cvt_pk_bf8_f32 v13, v12, v12
	v_cvt_f32_i32_e32 v12, v13
	v_med3_f32 v13, v12, s61, v60
	v_mov_b32_e32 v12, 0
	v_cvt_pk_bf8_f32 v12, v13, v13
	v_and_b32_e32 v13, 0xff, v34
	v_cvt_pk_f32_bf8_e32 v[20:21], v13
	v_mov_b32_e32 v13, 0
	;;#ASMSTART
	v_pk_add_f32 v[20:21], v[20:21], v[30:31]
	;;#ASMEND
	v_cvt_pk_f32_bf8_e32 v[30:31], v24
	v_cvt_pk_bf8_f32 v13, v20, v20
	v_mov_b32_e32 v34, 0
	v_cvt_f32_i32_e32 v13, v13
	v_med3_f32 v20, v13, s61, v60
	v_mov_b32_e32 v13, 0
	v_cvt_pk_bf8_f32 v13, v20, v20
	v_cvt_pk_f32_bf8_e32 v[20:21], v18
	v_mov_b32_e32 v18, 0
	;;#ASMSTART
	v_pk_add_f32 v[20:21], v[20:21], v[30:31]
	;;#ASMEND
	v_cvt_pk_f32_bf8_e32 v[30:31], v23
	v_cvt_pk_bf8_f32 v18, v20, v20
	v_cvt_f32_i32_e32 v18, v18
	v_med3_f32 v20, v18, s61, v60
	v_mov_b32_e32 v18, 0
	v_cvt_pk_bf8_f32 v18, v20, v20
	v_cvt_pk_f32_bf8_e32 v[20:21], v5
	v_mov_b32_e32 v5, 0
	;;#ASMSTART
	v_pk_add_f32 v[20:21], v[20:21], v[30:31]
	;;#ASMEND
	v_cvt_pk_f32_bf8_e32 v[30:31], v61
	v_cvt_pk_bf8_f32 v5, v20, v20
	;; [unrolled: 11-line block ×4, first 2 shown]
	v_cvt_f32_i32_e32 v9, v9
	v_med3_f32 v20, v9, s61, v60
	v_mov_b32_e32 v9, 0
	v_cvt_pk_bf8_f32 v9, v20, v20
	v_and_b32_e32 v20, 0xff, v44
	v_cvt_pk_f32_bf8_e32 v[20:21], v20
	;;#ASMSTART
	v_pk_add_f32 v[20:21], v[20:21], v[30:31]
	;;#ASMEND
	v_mov_b32_e32 v44, 0
	v_mov_b32_e32 v21, 0
	v_cvt_pk_bf8_f32 v21, v20, v20
	v_cvt_pk_f32_bf8_e32 v[30:31], v46
	v_cvt_f32_i32_e32 v20, v21
	v_med3_f32 v20, v20, s61, v60
	v_cvt_pk_bf8_f32 v44, v20, v20
	v_cvt_pk_f32_bf8_e32 v[20:21], v8
	v_mov_b32_e32 v8, 0
	;;#ASMSTART
	v_pk_add_f32 v[20:21], v[20:21], v[30:31]
	;;#ASMEND
	v_cvt_pk_f32_bf8_e32 v[30:31], v42
	v_cvt_pk_bf8_f32 v8, v20, v20
	v_cvt_f32_i32_e32 v8, v8
	v_med3_f32 v20, v8, s61, v60
	v_mov_b32_e32 v8, 0
	v_cvt_pk_bf8_f32 v8, v20, v20
	v_cvt_pk_f32_bf8_e32 v[20:21], v4
	v_mov_b32_e32 v4, 0
	;;#ASMSTART
	v_pk_add_f32 v[20:21], v[20:21], v[30:31]
	;;#ASMEND
	v_cvt_pk_f32_bf8_e32 v[30:31], v17
	v_cvt_pk_bf8_f32 v4, v20, v20
	v_mov_b32_e32 v17, 0
	v_cvt_f32_i32_e32 v4, v4
	v_med3_f32 v20, v4, s61, v60
	v_mov_b32_e32 v4, 0
	v_cvt_pk_bf8_f32 v4, v20, v20
	v_and_b32_e32 v20, 0xff, v59
	v_cvt_pk_f32_bf8_e32 v[20:21], v20
	;;#ASMSTART
	v_pk_add_f32 v[20:21], v[20:21], v[30:31]
	;;#ASMEND
	v_mov_b32_e32 v59, 0
	v_cvt_pk_bf8_f32 v17, v20, v20
	v_cvt_pk_f32_bf8_e32 v[30:31], v41
	v_cvt_f32_i32_e32 v17, v17
	v_med3_f32 v17, v17, s61, v60
	v_cvt_pk_bf8_f32 v59, v17, v17
	v_and_b32_e32 v17, 0xff, v47
	v_cvt_pk_f32_bf8_e32 v[20:21], v17
	v_mov_b32_e32 v17, 0
	;;#ASMSTART
	v_pk_add_f32 v[20:21], v[20:21], v[30:31]
	;;#ASMEND
	v_mov_b32_e32 v47, 0
	v_cvt_pk_bf8_f32 v17, v20, v20
	v_cvt_pk_f32_bf8_e32 v[30:31], v40
	v_cvt_f32_i32_e32 v17, v17
	v_med3_f32 v17, v17, s61, v60
	v_cvt_pk_bf8_f32 v47, v17, v17
	v_and_b32_e32 v17, 0xff, v43
	v_cvt_pk_f32_bf8_e32 v[20:21], v17
	v_mov_b32_e32 v17, 0
	;; [unrolled: 12-line block ×6, first 2 shown]
	;;#ASMSTART
	v_pk_add_f32 v[20:21], v[20:21], v[30:31]
	;;#ASMEND
	v_cvt_pk_f32_bf8_e32 v[30:31], v56
	v_cvt_pk_bf8_f32 v17, v20, v20
	v_mov_b32_e32 v28, 0
	v_cvt_f32_i32_e32 v17, v17
	v_med3_f32 v17, v17, s61, v60
	v_cvt_pk_bf8_f32 v34, v17, v17
	v_and_b32_e32 v17, 0xff, v55
	v_cvt_pk_f32_bf8_e32 v[20:21], v17
	v_mov_b32_e32 v17, 0
	;;#ASMSTART
	v_pk_add_f32 v[20:21], v[20:21], v[30:31]
	;;#ASMEND
	v_cvt_pk_f32_bf8_e32 v[30:31], v35
	v_cvt_pk_bf8_f32 v17, v20, v20
	v_mov_b32_e32 v35, 0
	v_cvt_f32_i32_e32 v17, v17
	v_med3_f32 v17, v17, s61, v60
	v_cvt_pk_bf8_f32 v28, v17, v17
	v_and_b32_e32 v17, 0xff, v54
	v_cvt_pk_f32_bf8_e32 v[20:21], v17
	v_mov_b32_e32 v17, 0
	;; [unrolled: 12-line block ×6, first 2 shown]
	;;#ASMSTART
	v_pk_add_f32 v[20:21], v[20:21], v[30:31]
	;;#ASMEND
	v_cvt_pk_f32_bf8_e32 v[30:31], v15
	v_cvt_pk_bf8_f32 v17, v20, v20
	v_mov_b32_e32 v15, 0
	v_cvt_f32_i32_e32 v17, v17
	v_med3_f32 v17, v17, s61, v60
	v_cvt_pk_bf8_f32 v26, v17, v17
	v_and_b32_e32 v17, 0xff, v32
	v_cvt_pk_f32_bf8_e32 v[20:21], v17
	;;#ASMSTART
	v_pk_add_f32 v[20:21], v[20:21], v[30:31]
	;;#ASMEND
	v_cvt_pk_f32_bf8_e32 v[16:17], v16
	v_cvt_pk_bf8_f32 v15, v20, v20
	v_cvt_pk_f32_bf8_e32 v[20:21], v6
	v_mov_b32_e32 v6, 0
	;;#ASMSTART
	v_pk_add_f32 v[16:17], v[20:21], v[16:17]
	;;#ASMEND
	v_cvt_f32_i32_e32 v15, v15
	v_cvt_pk_bf8_f32 v6, v16, v16
	v_mov_b32_e32 v32, 0
	v_med3_f32 v15, v15, s61, v60
	v_cvt_f32_i32_e32 v6, v6
	v_cvt_pk_bf8_f32 v32, v15, v15
	v_mov_b32_e32 v15, 0
	v_med3_f32 v6, v6, s61, v60
	v_cvt_pk_bf8_f32 v15, v6, v6
	v_and_b32_e32 v6, 0xff, v14
	v_cvt_pk_f32_bf8_e32 v[16:17], v6
	v_accvgpr_read_b32 v6, a10
	v_cvt_pk_f32_bf8_e32 v[20:21], v6
	v_mov_b32_e32 v6, 0
	;;#ASMSTART
	v_pk_add_f32 v[16:17], v[16:17], v[20:21]
	;;#ASMEND
	v_mov_b32_e32 v14, 0
	v_cvt_pk_bf8_f32 v6, v16, v16
	v_mov_b32_e32 v16, 0
	v_cvt_f32_i32_e32 v6, v6
	v_med3_f32 v6, v6, s61, v60
	v_cvt_pk_bf8_f32 v16, v6, v6
	v_and_b32_e32 v6, 0xff, v19
	v_cvt_pk_f32_bf8_e32 v[20:21], v6
	v_accvgpr_read_b32 v6, a62
	v_cvt_pk_f32_bf8_e32 v[30:31], v6
	v_mov_b32_e32 v6, 0
	;;#ASMSTART
	v_pk_add_f32 v[20:21], v[20:21], v[30:31]
	;;#ASMEND
	v_mov_b32_e32 v19, 0
	v_cvt_pk_bf8_f32 v6, v20, v20
	v_cvt_f32_i32_e32 v6, v6
	v_med3_f32 v6, v6, s61, v60
	v_cvt_pk_bf8_f32 v14, v6, v6
	v_and_b32_e32 v6, 0xff, v25
	v_cvt_pk_f32_bf8_e32 v[20:21], v6
	v_accvgpr_read_b32 v6, a61
	v_cvt_pk_f32_bf8_e32 v[24:25], v6
	v_mov_b32_e32 v6, 0
	;;#ASMSTART
	v_pk_add_f32 v[20:21], v[20:21], v[24:25]
	;;#ASMEND
	v_mov_b32_e32 v25, 0
	v_cvt_pk_bf8_f32 v6, v20, v20
	v_cvt_f32_i32_e32 v6, v6
	v_med3_f32 v6, v6, s61, v60
	v_cvt_pk_bf8_f32 v25, v6, v6
	v_accvgpr_read_b32 v6, a55
	v_and_b32_e32 v6, 0xff, v6
	v_cvt_pk_f32_bf8_e32 v[20:21], v6
	v_accvgpr_read_b32 v6, a60
	v_cvt_pk_f32_bf8_e32 v[30:31], v6
	v_mov_b32_e32 v6, 0
	;;#ASMSTART
	v_pk_add_f32 v[20:21], v[20:21], v[30:31]
	;;#ASMEND
	s_nop 0
	v_cvt_pk_bf8_f32 v6, v20, v20
	v_cvt_f32_i32_e32 v6, v6
	v_med3_f32 v17, v6, s61, v60
	v_mov_b32_e32 v6, 0
	v_cvt_pk_bf8_f32 v6, v17, v17
	v_and_b32_e32 v17, 0xff, v22
	v_cvt_pk_f32_bf8_e32 v[20:21], v17
	v_accvgpr_read_b32 v17, a59
	v_cvt_pk_f32_bf8_e32 v[22:23], v17
	v_mov_b32_e32 v17, 0
	;;#ASMSTART
	v_pk_add_f32 v[20:21], v[20:21], v[22:23]
	;;#ASMEND
	s_nop 0
	v_cvt_pk_bf8_f32 v17, v20, v20
	v_cvt_f32_i32_e32 v17, v17
	v_med3_f32 v17, v17, s61, v60
	v_cvt_pk_bf8_f32 v19, v17, v17
	v_accvgpr_read_b32 v17, a54
	v_and_b32_e32 v17, 0xff, v17
	v_cvt_pk_f32_bf8_e32 v[20:21], v17
	v_accvgpr_read_b32 v17, a58
	v_cvt_pk_f32_bf8_e32 v[22:23], v17
	v_mov_b32_e32 v17, 0
	;;#ASMSTART
	v_pk_add_f32 v[20:21], v[20:21], v[22:23]
	;;#ASMEND
	v_mov_b32_e32 v22, 0
	v_cvt_pk_bf8_f32 v17, v20, v20
	v_cvt_f32_i32_e32 v17, v17
	v_med3_f32 v17, v17, s61, v60
	v_cvt_pk_bf8_f32 v22, v17, v17
	v_accvgpr_read_b32 v17, a53
	v_and_b32_e32 v17, 0xff, v17
	v_cvt_pk_f32_bf8_e32 v[20:21], v17
	v_accvgpr_read_b32 v17, a57
	v_cvt_pk_f32_bf8_e32 v[30:31], v17
	v_mov_b32_e32 v17, 0
	;;#ASMSTART
	v_pk_add_f32 v[20:21], v[20:21], v[30:31]
	;;#ASMEND
	s_nop 0
	v_cvt_pk_bf8_f32 v17, v20, v20
	v_mov_b32_e32 v21, 0
	v_mov_b32_e32 v20, 0
	v_cvt_f32_i32_e32 v17, v17
	v_med3_f32 v17, v17, s61, v60
	v_cvt_pk_bf8_f32 v21, v17, v17
	v_accvgpr_read_b32 v17, a52
	v_and_b32_e32 v17, 0xff, v17
	v_cvt_pk_f32_bf8_e32 v[30:31], v17
	v_accvgpr_read_b32 v17, a56
	v_cvt_pk_f32_bf8_e32 v[50:51], v17
	;;#ASMSTART
	v_pk_add_f32 v[30:31], v[30:31], v[50:51]
	;;#ASMEND
	v_mov_b32_e32 v17, 0
	v_cvt_pk_bf8_f32 v17, v30, v30
	v_add_co_u32_e32 v30, vcc, s63, v10
	v_accvgpr_read_b32 v51, a39
	s_nop 0
	v_addc_co_u32_e32 v31, vcc, -1, v11, vcc
	flat_store_byte v[30:31], v12 nt
	v_add_co_u32_e32 v30, vcc, s64, v10
	v_cvt_f32_i32_e32 v17, v17
	s_nop 0
	v_addc_co_u32_e32 v31, vcc, -1, v11, vcc
	v_add_co_u32_e32 v12, vcc, s65, v10
	flat_store_byte v[30:31], v13 nt
	s_nop 0
	v_addc_co_u32_e32 v13, vcc, -1, v11, vcc
	flat_store_byte v[12:13], v18 nt
	v_add_co_u32_e32 v12, vcc, s66, v10
	v_med3_f32 v17, v17, s61, v60
	s_nop 0
	v_addc_co_u32_e32 v13, vcc, -1, v11, vcc
	flat_store_byte v[12:13], v5 nt
	v_add_co_u32_e32 v12, vcc, s67, v10
	v_cvt_pk_bf8_f32 v20, v17, v17
	s_nop 0
	v_addc_co_u32_e32 v13, vcc, -1, v11, vcc
	flat_store_byte v[12:13], v7 nt
	v_add_co_u32_e32 v12, vcc, s68, v10
	v_accvgpr_read_b32 v50, a38
	s_nop 0
	v_addc_co_u32_e32 v13, vcc, -1, v11, vcc
	flat_store_byte v[12:13], v9 nt
	v_add_co_u32_e32 v12, vcc, s69, v10
	v_lshl_add_u64 v[0:1], v[0:1], 0, v[50:51]
	s_nop 0
	v_addc_co_u32_e32 v13, vcc, -1, v11, vcc
	flat_store_byte v[12:13], v44 nt
	v_add_co_u32_e32 v12, vcc, s70, v10
	v_lshl_add_u64 v[2:3], v[2:3], 0, v[50:51]
	s_nop 0
	v_addc_co_u32_e32 v13, vcc, -1, v11, vcc
	flat_store_byte v[12:13], v8 nt
	v_add_co_u32_e32 v8, vcc, s71, v10
	s_nop 1
	v_addc_co_u32_e32 v9, vcc, -1, v11, vcc
	flat_store_byte v[8:9], v4 nt
	v_add_co_u32_e32 v4, vcc, s72, v10
	;; [unrolled: 4-line block ×22, first 2 shown]
	v_accvgpr_read_b32 v18, a30
	s_nop 0
	v_addc_co_u32_e32 v5, vcc, -1, v11, vcc
	flat_store_byte v[4:5], v22 nt
	v_add_co_u32_e32 v4, vcc, 0xffffffc0, v10
	v_sub_u32_e32 v48, v48, v18
	s_nop 0
	v_addc_co_u32_e32 v5, vcc, -1, v11, vcc
	v_cmp_gt_i32_e32 vcc, 1, v48
	v_accvgpr_read_b32 v19, a31
	flat_store_byte v[4:5], v21 nt
	flat_store_byte v[10:11], v20 nt
	v_lshl_add_u64 v[10:11], v[10:11], 0, v[50:51]
	s_or_b64 s[38:39], vcc, s[38:39]
	s_andn2_b64 exec, exec, s[38:39]
	s_cbranch_execnz .LBB6_311
; %bb.312:                              ;   in Loop: Header=BB6_226 Depth=1
	s_or_b64 exec, exec, s[38:39]
	v_accvgpr_read_b32 v21, a7
	v_accvgpr_read_b32 v25, a9
	;; [unrolled: 1-line block ×39, first 2 shown]
.LBB6_313:                              ;   in Loop: Header=BB6_226 Depth=1
	s_or_b64 exec, exec, s[36:37]
	v_lshlrev_b32_e32 v0, 11, v4
	v_cmp_ne_u32_e32 vcc, v3, v0
	s_and_b64 exec, exec, vcc
	s_cbranch_execz .LBB6_317
; %bb.314:                              ;   in Loop: Header=BB6_226 Depth=1
	v_add_u32_e32 v1, v2, v1
	v_and_b32_e32 v1, 0xffffffc0, v1
	v_sub_u32_e32 v1, v2, v1
	v_lshlrev_b32_e32 v2, 6, v48
	v_sub_u32_e32 v1, v1, v2
	v_add_u32_e32 v0, v0, v1
	v_sub_u32_e32 v4, v3, v0
	v_cmp_lt_i32_e32 vcc, 0, v4
	s_and_b64 exec, exec, vcc
	s_cbranch_execz .LBB6_317
; %bb.315:                              ;   in Loop: Header=BB6_226 Depth=1
	s_trap 2
	ds_read_b128 v[6:9], v0
	ds_read_b64 v[10:11], v0
	v_add_u32_e32 v12, v0, v12
	v_ashrrev_i32_e32 v13, 31, v12
	s_mov_b64 s[36:37], 0
	s_waitcnt lgkmcnt(0)
	v_lshl_add_u64 v[0:1], v[6:7], 0, v[12:13]
	v_lshl_add_u64 v[2:3], v[8:9], 0, v[12:13]
	;; [unrolled: 1-line block ×3, first 2 shown]
.LBB6_316:                              ;   Parent Loop BB6_226 Depth=1
                                        ; =>  This Inner Loop Header: Depth=2
	s_trap 2
	flat_load_ubyte v5, v[0:1] nt
	flat_load_ubyte v6, v[2:3] nt
	ds_read_b32 v7, v0
	v_mov_b32_e32 v8, 0
	v_sub_u32_e32 v4, v4, v50
	v_lshl_add_u64 v[0:1], v[0:1], 0, v[50:51]
	v_lshl_add_u64 v[2:3], v[2:3], 0, v[50:51]
	s_waitcnt lgkmcnt(0)
	v_and_b32_e32 v7, 0xff, v7
	v_cvt_f32_bf8_sdwa v7, v7 src0_sel:BYTE_0
	s_waitcnt vmcnt(0)
	v_cvt_f32_bf8_sdwa v5, v5 src0_sel:BYTE_0
	s_nop 0
	v_mul_f32_e32 v5, v7, v5
	v_med3_f32 v7, v5, s61, v60
	v_cmp_nlg_f32_e64 vcc, |v5|, s59
	s_nop 1
	v_cndmask_b32_e32 v5, v7, v5, vcc
	v_cvt_pk_bf8_f32 v8, v5, v5
	v_cvt_pk_f32_bf8_e32 v[6:7], v6
	v_cmp_gt_i32_e32 vcc, 1, v4
	s_or_b64 s[36:37], vcc, s[36:37]
	v_and_b32_e32 v5, 0xff, v8
	v_cvt_pk_f32_bf8_e32 v[8:9], v5
	v_mov_b32_e32 v5, 0
	;;#ASMSTART
	v_pk_add_f32 v[6:7], v[8:9], v[6:7]
	;;#ASMEND
	s_nop 0
	v_cvt_pk_bf8_f32 v5, v6, v6
	v_mov_b32_e32 v6, 0
	v_cvt_f32_i32_e32 v5, v5
	v_med3_f32 v5, v5, s61, v60
	v_cvt_pk_bf8_f32 v6, v5, v5
	flat_store_byte v[10:11], v6 nt
	v_lshl_add_u64 v[10:11], v[10:11], 0, v[50:51]
	s_andn2_b64 exec, exec, s[36:37]
	s_cbranch_execnz .LBB6_316
.LBB6_317:                              ;   in Loop: Header=BB6_226 Depth=1
	s_or_b64 exec, exec, s[14:15]
	v_cmp_ne_u32_e64 s[14:15], 0, v32
.LBB6_318:                              ;   in Loop: Header=BB6_226 Depth=1
	s_and_saveexec_b64 s[36:37], s[4:5]
	s_cbranch_execz .LBB6_337
; %bb.319:                              ;   in Loop: Header=BB6_226 Depth=1
	s_and_saveexec_b64 vcc, s[22:23]
	s_xor_b64 s[38:39], exec, vcc
	s_cbranch_execz .LBB6_334
; %bb.320:                              ;   in Loop: Header=BB6_226 Depth=1
	s_and_saveexec_b64 s[40:41], s[6:7]
	s_cbranch_execz .LBB6_333
; %bb.321:                              ;   in Loop: Header=BB6_226 Depth=1
	s_mov_b64 s[46:47], exec
	v_mbcnt_lo_u32_b32 v0, s46, 0
	v_mbcnt_hi_u32_b32 v0, s47, v0
	v_cmp_eq_u32_e32 vcc, 0, v0
	s_waitcnt lgkmcnt(0)
	s_and_saveexec_b64 s[42:43], vcc
	s_cbranch_execz .LBB6_323
; %bb.322:                              ;   in Loop: Header=BB6_226 Depth=1
	s_bcnt1_i32_b64 vcc_lo, s[46:47]
	v_mov_b32_e32 v32, vcc_lo
	ds_add_u64 v0, v[32:33]
	s_trap 2
.LBB6_323:                              ;   in Loop: Header=BB6_226 Depth=1
	s_or_b64 exec, exec, s[42:43]
	s_trap 2
	ds_read_b64 v[0:1], v0
	v_lshl_add_u64 v[14:15], v[14:15], 0, v[18:19]
	s_waitcnt lgkmcnt(0)
	v_cmp_lt_u64_e32 vcc, v[0:1], v[14:15]
	s_and_saveexec_b64 s[42:43], vcc
	s_cbranch_execz .LBB6_332
; %bb.324:                              ;   in Loop: Header=BB6_226 Depth=1
	s_mov_b32 s89, 0
	s_mov_b64 s[46:47], 0
                                        ; implicit-def: $sgpr48_sgpr49
                                        ; implicit-def: $sgpr50_sgpr51
	s_branch .LBB6_326
.LBB6_325:                              ;   in Loop: Header=BB6_326 Depth=2
	s_or_b64 exec, exec, s[54:55]
	s_and_b64 vcc, exec, vcc
	s_or_b64 s[46:47], vcc, s[46:47]
	s_andn2_b64 vcc, s[48:49], exec
	s_and_b64 s[48:49], s[50:51], exec
	s_or_b64 s[48:49], vcc, s[48:49]
	s_andn2_b64 exec, exec, s[46:47]
	s_cbranch_execz .LBB6_330
.LBB6_326:                              ;   Parent Loop BB6_226 Depth=1
                                        ; =>  This Inner Loop Header: Depth=2
	s_add_i32 s89, s89, 1
	s_cmpk_lg_i32 s89, 0x2710
	s_cselect_b64 s[52:53], -1, 0
	s_and_b64 vcc, exec, s[52:53]
                                        ; implicit-def: $sgpr54_sgpr55
	s_cbranch_vccnz .LBB6_328
; %bb.327:                              ;   in Loop: Header=BB6_326 Depth=2
	s_trap 2
	ds_read_b64 v[0:1], v0
	s_andn2_b64 s[52:53], s[52:53], exec
	s_mov_b32 s89, 0
	s_mov_b64 s[54:55], -1
	s_waitcnt vmcnt(0) lgkmcnt(0)
	flat_load_dword v0, v[0:1] sc0 sc1
	s_waitcnt vmcnt(0) lgkmcnt(0)
	buffer_inv sc0 sc1
	v_cmp_eq_u32_e32 vcc, 0, v0
	s_and_b64 vcc, vcc, exec
	s_or_b64 s[52:53], s[52:53], vcc
.LBB6_328:                              ;   in Loop: Header=BB6_326 Depth=2
	s_andn2_b64 s[50:51], s[50:51], exec
	s_and_b64 s[54:55], s[54:55], exec
	s_mov_b64 vcc, -1
	s_or_b64 s[50:51], s[50:51], s[54:55]
	s_and_saveexec_b64 s[54:55], s[52:53]
	s_cbranch_execz .LBB6_325
; %bb.329:                              ;   in Loop: Header=BB6_326 Depth=2
	s_sleep 1
	s_trap 2
	ds_read_b64 v[0:1], v0
	s_andn2_b64 s[50:51], s[50:51], exec
	s_waitcnt lgkmcnt(0)
	v_cmp_ge_u64_e32 vcc, v[0:1], v[14:15]
	s_orn2_b64 vcc, vcc, exec
	s_branch .LBB6_325
.LBB6_330:                              ;   in Loop: Header=BB6_226 Depth=1
	s_or_b64 exec, exec, s[46:47]
	s_and_saveexec_b64 vcc, s[48:49]
	s_xor_b64 vcc, exec, vcc
	s_cbranch_execz .LBB6_332
; %bb.331:                              ;   in Loop: Header=BB6_226 Depth=1
	v_mov_b32_e32 v0, 1
	ds_write_b32 v0, v0
	s_trap 2
.LBB6_332:                              ;   in Loop: Header=BB6_226 Depth=1
	s_or_b64 exec, exec, s[42:43]
	;;#ASMSTART
	s_wakeup
	;;#ASMEND
.LBB6_333:                              ;   in Loop: Header=BB6_226 Depth=1
	s_or_b64 exec, exec, s[40:41]
.LBB6_334:                              ;   in Loop: Header=BB6_226 Depth=1
	s_andn2_saveexec_b64 vcc, s[38:39]
	s_cbranch_execz .LBB6_336
; %bb.335:                              ;   in Loop: Header=BB6_226 Depth=1
	s_waitcnt lgkmcnt(0)
	s_barrier
.LBB6_336:                              ;   in Loop: Header=BB6_226 Depth=1
	s_or_b64 exec, exec, vcc
.LBB6_337:                              ;   in Loop: Header=BB6_226 Depth=1
	s_or_b64 exec, exec, s[36:37]
	v_and_b32_e32 v0, 16, v56
	v_cmp_ne_u32_e32 vcc, 0, v0
	s_and_b64 vcc, vcc, s[14:15]
	s_and_saveexec_b64 s[14:15], vcc
	s_cbranch_execz .LBB6_339
; %bb.338:                              ;   in Loop: Header=BB6_226 Depth=1
	buffer_wbl2 sc1
	s_waitcnt vmcnt(0) lgkmcnt(0)
	buffer_inv sc1
.LBB6_339:                              ;   in Loop: Header=BB6_226 Depth=1
	s_or_b64 exec, exec, s[14:15]
	v_and_b32_e32 v0, 32, v56
	v_cmp_ne_u32_e32 vcc, 0, v0
	s_and_saveexec_b64 s[14:15], vcc
	s_cbranch_execz .LBB6_341
; %bb.340:                              ;   in Loop: Header=BB6_226 Depth=1
	v_lshl_add_u64 v[28:29], v[28:29], 0, 1
	flat_store_dwordx2 v[30:31], v[28:29] sc0 sc1
.LBB6_341:                              ;   in Loop: Header=BB6_226 Depth=1
	s_or_b64 exec, exec, s[14:15]
	v_mov_b32_e32 v4, v40
.LBB6_342:                              ;   in Loop: Header=BB6_226 Depth=1
	s_or_b64 exec, exec, s[34:35]
	s_and_saveexec_b64 s[34:35], s[30:31]
	s_cbranch_execz .LBB6_225
; %bb.343:                              ;   in Loop: Header=BB6_226 Depth=1
	v_and_b32_e32 v0, 4, v56
	v_cmp_ne_u32_e32 vcc, 0, v0
	s_mov_b64 s[30:31], -1
	v_lshl_add_u64 v[0:1], v[28:29], 0, 1
	s_and_saveexec_b64 s[14:15], vcc
	s_cbranch_execnz .LBB6_346
; %bb.344:                              ;   in Loop: Header=BB6_226 Depth=1
	s_or_b64 exec, exec, s[14:15]
	s_xor_b64 s[14:15], s[30:31], -1
	s_and_saveexec_b64 s[30:31], s[14:15]
	s_cbranch_execnz .LBB6_357
.LBB6_345:                              ;   in Loop: Header=BB6_226 Depth=1
	s_or_b64 exec, exec, s[30:31]
	s_and_saveexec_b64 s[14:15], s[4:5]
	s_cbranch_execnz .LBB6_366
	s_branch .LBB6_384
.LBB6_346:                              ;   in Loop: Header=BB6_226 Depth=1
	v_lshl_add_u64 v[2:3], v[28:29], 0, 1
	v_cmp_lt_u64_e32 vcc, v[38:39], v[2:3]
	v_mov_b32_e32 v5, 1
	s_and_saveexec_b64 s[30:31], vcc
	s_cbranch_execz .LBB6_356
; %bb.347:                              ;   in Loop: Header=BB6_226 Depth=1
	s_mov_b64 s[36:37], 0
	v_mov_b32_e32 v5, 0
                                        ; implicit-def: $sgpr38_sgpr39
	s_branch .LBB6_351
.LBB6_348:                              ;   in Loop: Header=BB6_351 Depth=2
	s_or_b64 exec, exec, s[48:49]
	v_mov_b32_e32 v6, 0
	s_orn2_b64 s[46:47], s[46:47], exec
.LBB6_349:                              ;   in Loop: Header=BB6_351 Depth=2
	s_or_b64 exec, exec, s[42:43]
	s_andn2_b64 vcc, s[38:39], exec
	s_and_b64 s[38:39], s[46:47], exec
	s_or_b64 s[38:39], vcc, s[38:39]
	v_mov_b32_e32 v5, v6
.LBB6_350:                              ;   in Loop: Header=BB6_351 Depth=2
	s_or_b64 exec, exec, s[40:41]
	s_waitcnt vmcnt(0) lgkmcnt(0)
	v_cmp_ge_u64_e32 vcc, v[38:39], v[2:3]
	s_xor_b64 s[40:41], s[38:39], -1
	s_or_b64 vcc, s[40:41], vcc
	s_and_b64 vcc, exec, vcc
	s_or_b64 s[36:37], vcc, s[36:37]
	s_andn2_b64 exec, exec, s[36:37]
	s_cbranch_execz .LBB6_355
.LBB6_351:                              ;   Parent Loop BB6_226 Depth=1
                                        ; =>  This Inner Loop Header: Depth=2
	s_sleep 1
	flat_load_dwordx2 v[38:39], v[30:31] sc0 sc1
	v_and_b32_e32 v6, 64, v56
	v_cmp_eq_u32_e32 vcc, 0, v6
	s_andn2_b64 s[38:39], s[38:39], exec
	s_and_saveexec_b64 s[40:41], vcc
	s_cbranch_execz .LBB6_350
; %bb.352:                              ;   in Loop: Header=BB6_351 Depth=2
	v_add_u32_e32 v6, 1, v5
	v_cmp_lt_i32_e32 vcc, s58, v5
	s_mov_b64 s[46:47], -1
	s_and_saveexec_b64 s[42:43], vcc
	s_cbranch_execz .LBB6_349
; %bb.353:                              ;   in Loop: Header=BB6_351 Depth=2
	s_trap 2
	ds_read_b64 v[6:7], v0
	s_waitcnt vmcnt(0) lgkmcnt(0)
	flat_load_dword v5, v[6:7] sc0 sc1
	s_waitcnt vmcnt(0) lgkmcnt(0)
	buffer_inv sc0 sc1
	v_cmp_ne_u32_e32 vcc, 0, v5
	s_and_saveexec_b64 s[48:49], vcc
	s_cbranch_execz .LBB6_348
; %bb.354:                              ;   in Loop: Header=BB6_351 Depth=2
	v_or_b32_e32 v56, 64, v56
	s_xor_b64 s[46:47], exec, -1
	ds_write_b32 v0, v5
	s_trap 2
	s_branch .LBB6_348
.LBB6_355:                              ;   in Loop: Header=BB6_226 Depth=1
	s_or_b64 exec, exec, s[36:37]
	v_and_b32_e32 v5, 4, v56
.LBB6_356:                              ;   in Loop: Header=BB6_226 Depth=1
	s_or_b64 exec, exec, s[30:31]
	v_cmp_eq_u32_e32 vcc, 0, v5
	s_orn2_b64 s[30:31], vcc, exec
	;;#ASMSTART
	s_wakeup
	;;#ASMEND
	s_or_b64 exec, exec, s[14:15]
	s_xor_b64 s[14:15], s[30:31], -1
	s_and_saveexec_b64 s[30:31], s[14:15]
	s_cbranch_execz .LBB6_345
.LBB6_357:                              ;   in Loop: Header=BB6_226 Depth=1
	v_and_b32_e32 v2, 0x100, v56
	v_cmp_ne_u32_e32 vcc, 0, v2
	v_and_b32_e32 v5, 7, v28
	s_mov_b64 s[14:15], -1
                                        ; implicit-def: $vgpr2_vgpr3
	s_and_saveexec_b64 s[36:37], vcc
	s_cbranch_execz .LBB6_361
; %bb.358:                              ;   in Loop: Header=BB6_226 Depth=1
	v_mad_u64_u32 v[8:9], s[14:15], v5, 24, v[26:27]
	flat_load_dword v2, v[8:9]
	s_waitcnt vmcnt(0) lgkmcnt(0)
	v_cmp_ne_u32_e32 vcc, 1, v2
	v_cmp_eq_u32_e64 s[14:15], 1, v2
                                        ; implicit-def: $vgpr2_vgpr3
	s_and_saveexec_b64 s[38:39], s[14:15]
	s_cbranch_execz .LBB6_360
; %bb.359:                              ;   in Loop: Header=BB6_226 Depth=1
	flat_load_dword v2, v[8:9] offset:4 sc0 sc1
	s_waitcnt vmcnt(0) lgkmcnt(0)
	v_ashrrev_i32_e32 v3, 31, v2
.LBB6_360:                              ;   in Loop: Header=BB6_226 Depth=1
	s_or_b64 exec, exec, s[38:39]
	s_orn2_b64 s[14:15], vcc, exec
.LBB6_361:                              ;   in Loop: Header=BB6_226 Depth=1
	s_or_b64 exec, exec, s[36:37]
	s_and_saveexec_b64 vcc, s[14:15]
; %bb.362:                              ;   in Loop: Header=BB6_226 Depth=1
	v_mad_i64_i32 v[2:3], s[14:15], v5, v34, 0
; %bb.363:                              ;   in Loop: Header=BB6_226 Depth=1
	s_or_b64 exec, exec, vcc
	v_lshl_add_u64 v[2:3], v[36:37], 0, v[2:3]
	ds_write_b64 v0, v[2:3] offset:728
	v_and_b32_e32 v2, 0x2000, v56
	v_cmp_ne_u32_e32 vcc, 0, v2
	s_and_saveexec_b64 s[14:15], vcc
	s_cbranch_execz .LBB6_365
; %bb.364:                              ;   in Loop: Header=BB6_226 Depth=1
	ds_read_b64 v[2:3], v0 offset:584
	s_waitcnt lgkmcnt(0)
	v_lshl_add_u64 v[2:3], v[2:3], 0, 1
	ds_write_b64 v0, v[2:3] offset:584
.LBB6_365:                              ;   in Loop: Header=BB6_226 Depth=1
	s_or_b64 exec, exec, s[14:15]
	v_mov_b64_e32 v[28:29], v[0:1]
	s_or_b64 exec, exec, s[30:31]
	s_and_saveexec_b64 s[14:15], s[4:5]
	s_cbranch_execz .LBB6_384
.LBB6_366:                              ;   in Loop: Header=BB6_226 Depth=1
	s_and_saveexec_b64 vcc, s[22:23]
	s_xor_b64 s[30:31], exec, vcc
	s_cbranch_execz .LBB6_381
; %bb.367:                              ;   in Loop: Header=BB6_226 Depth=1
	s_and_saveexec_b64 s[36:37], s[6:7]
	s_cbranch_execz .LBB6_380
; %bb.368:                              ;   in Loop: Header=BB6_226 Depth=1
	s_mov_b64 s[40:41], exec
	v_mbcnt_lo_u32_b32 v0, s40, 0
	v_mbcnt_hi_u32_b32 v0, s41, v0
	v_cmp_eq_u32_e32 vcc, 0, v0
	s_waitcnt lgkmcnt(0)
	s_and_saveexec_b64 s[38:39], vcc
	s_cbranch_execz .LBB6_370
; %bb.369:                              ;   in Loop: Header=BB6_226 Depth=1
	s_bcnt1_i32_b64 vcc_lo, s[40:41]
	v_mov_b32_e32 v32, vcc_lo
	ds_add_u64 v0, v[32:33]
	s_trap 2
.LBB6_370:                              ;   in Loop: Header=BB6_226 Depth=1
	s_or_b64 exec, exec, s[38:39]
	s_trap 2
	ds_read_b64 v[0:1], v0
	v_lshl_add_u64 v[14:15], v[14:15], 0, v[18:19]
	s_waitcnt lgkmcnt(0)
	v_cmp_lt_u64_e32 vcc, v[0:1], v[14:15]
	s_and_saveexec_b64 s[38:39], vcc
	s_cbranch_execz .LBB6_379
; %bb.371:                              ;   in Loop: Header=BB6_226 Depth=1
	s_mov_b32 s52, 0
	s_mov_b64 s[40:41], 0
                                        ; implicit-def: $sgpr42_sgpr43
                                        ; implicit-def: $sgpr46_sgpr47
	s_branch .LBB6_373
.LBB6_372:                              ;   in Loop: Header=BB6_373 Depth=2
	s_or_b64 exec, exec, s[50:51]
	s_and_b64 vcc, exec, vcc
	s_or_b64 s[40:41], vcc, s[40:41]
	s_andn2_b64 vcc, s[42:43], exec
	s_and_b64 s[42:43], s[46:47], exec
	s_or_b64 s[42:43], vcc, s[42:43]
	s_andn2_b64 exec, exec, s[40:41]
	s_cbranch_execz .LBB6_377
.LBB6_373:                              ;   Parent Loop BB6_226 Depth=1
                                        ; =>  This Inner Loop Header: Depth=2
	s_add_i32 s52, s52, 1
	s_cmpk_lg_i32 s52, 0x2710
	s_cselect_b64 s[48:49], -1, 0
	s_and_b64 vcc, exec, s[48:49]
                                        ; implicit-def: $sgpr50_sgpr51
	s_cbranch_vccnz .LBB6_375
; %bb.374:                              ;   in Loop: Header=BB6_373 Depth=2
	s_trap 2
	ds_read_b64 v[0:1], v0
	s_andn2_b64 s[48:49], s[48:49], exec
	s_mov_b32 s52, 0
	s_mov_b64 s[50:51], -1
	s_waitcnt vmcnt(0) lgkmcnt(0)
	flat_load_dword v0, v[0:1] sc0 sc1
	s_waitcnt vmcnt(0) lgkmcnt(0)
	buffer_inv sc0 sc1
	v_cmp_eq_u32_e32 vcc, 0, v0
	s_and_b64 vcc, vcc, exec
	s_or_b64 s[48:49], s[48:49], vcc
.LBB6_375:                              ;   in Loop: Header=BB6_373 Depth=2
	s_andn2_b64 s[46:47], s[46:47], exec
	s_and_b64 s[50:51], s[50:51], exec
	s_mov_b64 vcc, -1
	s_or_b64 s[46:47], s[46:47], s[50:51]
	s_and_saveexec_b64 s[50:51], s[48:49]
	s_cbranch_execz .LBB6_372
; %bb.376:                              ;   in Loop: Header=BB6_373 Depth=2
	s_sleep 1
	s_trap 2
	ds_read_b64 v[0:1], v0
	s_andn2_b64 s[46:47], s[46:47], exec
	s_waitcnt lgkmcnt(0)
	v_cmp_ge_u64_e32 vcc, v[0:1], v[14:15]
	s_orn2_b64 vcc, vcc, exec
	s_branch .LBB6_372
.LBB6_377:                              ;   in Loop: Header=BB6_226 Depth=1
	s_or_b64 exec, exec, s[40:41]
	s_and_saveexec_b64 vcc, s[42:43]
	s_xor_b64 vcc, exec, vcc
	s_cbranch_execz .LBB6_379
; %bb.378:                              ;   in Loop: Header=BB6_226 Depth=1
	v_mov_b32_e32 v0, 1
	ds_write_b32 v0, v0
	s_trap 2
.LBB6_379:                              ;   in Loop: Header=BB6_226 Depth=1
	s_or_b64 exec, exec, s[38:39]
	;;#ASMSTART
	s_wakeup
	;;#ASMEND
.LBB6_380:                              ;   in Loop: Header=BB6_226 Depth=1
	s_or_b64 exec, exec, s[36:37]
.LBB6_381:                              ;   in Loop: Header=BB6_226 Depth=1
	s_andn2_saveexec_b64 vcc, s[30:31]
	s_cbranch_execz .LBB6_383
; %bb.382:                              ;   in Loop: Header=BB6_226 Depth=1
	s_waitcnt lgkmcnt(0)
	s_barrier
.LBB6_383:                              ;   in Loop: Header=BB6_226 Depth=1
	s_or_b64 exec, exec, vcc
.LBB6_384:                              ;   in Loop: Header=BB6_226 Depth=1
	s_or_b64 exec, exec, s[14:15]
	s_trap 2
	ds_read_b32 v0, v0
	v_sub_u32_e32 v1, v54, v4
	v_min_i32_e32 v1, v40, v1
	v_cmp_lt_i32_e32 vcc, 0, v1
	s_waitcnt lgkmcnt(0)
	v_readfirstlane_b32 s14, v0
	s_cmp_eq_u32 s14, 0
	s_cselect_b64 s[14:15], -1, 0
	v_and_b32_e32 v0, 16, v56
	s_and_b64 s[14:15], vcc, s[14:15]
	v_cmp_ne_u32_e32 vcc, 0, v0
	s_and_b64 vcc, vcc, s[14:15]
	s_and_saveexec_b64 s[14:15], vcc
	s_cbranch_execz .LBB6_386
; %bb.385:                              ;   in Loop: Header=BB6_226 Depth=1
	buffer_wbl2 sc1
	s_waitcnt vmcnt(0)
	buffer_inv sc1
.LBB6_386:                              ;   in Loop: Header=BB6_226 Depth=1
	s_or_b64 exec, exec, s[14:15]
	v_and_b32_e32 v0, 32, v56
	v_cmp_ne_u32_e32 vcc, 0, v0
	s_and_saveexec_b64 s[14:15], vcc
	s_cbranch_execz .LBB6_224
; %bb.387:                              ;   in Loop: Header=BB6_226 Depth=1
	v_lshl_add_u64 v[28:29], v[28:29], 0, 1
	flat_store_dwordx2 v[30:31], v[28:29] sc0 sc1
	s_branch .LBB6_224
.LBB6_388:
	s_or_b64 exec, exec, s[24:25]
.LBB6_389:
	s_or_b64 exec, exec, s[18:19]
.LBB6_390:
	s_or_b64 exec, exec, s[16:17]
                                        ; implicit-def: $vgpr24_vgpr25
                                        ; implicit-def: $vgpr20_vgpr21
                                        ; implicit-def: $vgpr48_vgpr49
                                        ; implicit-def: $vgpr34
                                        ; implicit-def: $vgpr38_vgpr39
                                        ; implicit-def: $vgpr36_vgpr37
                                        ; implicit-def: $vgpr30_vgpr31
                                        ; implicit-def: $vgpr61
                                        ; implicit-def: $vgpr1
                                        ; implicit-def: $vgpr16_vgpr17
.LBB6_391:
	s_andn2_saveexec_b64 s[46:47], s[20:21]
	s_cbranch_execz .LBB6_564
; %bb.392:
	s_mov_b64 s[50:51], 0
	v_cmp_ne_u64_e32 vcc, 0, v[20:21]
	v_mov_b64_e32 v[14:15], 0
	s_and_saveexec_b64 s[48:49], vcc
	s_cbranch_execz .LBB6_563
; %bb.393:
	s_trap 2
	scratch_load_dword v0, off, s33 offset:196 ; 4-byte Folded Reload
	v_lshrrev_b32_e32 v54, 6, v57
	s_mov_b64 s[14:15], 0x2000
	v_lshlrev_b32_e32 v60, 10, v54
	s_ashr_i32 s2, s60, 31
	s_lshr_b32 s2, s2, 24
	v_mov_b32_e32 v19, 0
	v_and_b32_e32 v52, 0xffffffc0, v57
	s_add_i32 s60, s60, s2
	v_cmp_eq_u32_e32 vcc, 64, v57
	v_mov_b32_e32 v55, v19
	v_ashrrev_i32_e32 v53, 31, v52
	v_mov_b64_e32 v[40:41], 0
	v_accvgpr_write_b32 a6, v20
	v_accvgpr_write_b32 a8, v24
	s_waitcnt vmcnt(0) lgkmcnt(0)
	v_accvgpr_write_b32 a18, v30
	v_accvgpr_write_b32 a22, v36
	;; [unrolled: 1-line block ×6, first 2 shown]
	s_ashr_i32 s66, s60, 8
	v_cmp_ge_i32_e64 s[2:3], v61, v57
	v_cmp_ne_u32_e64 s[4:5], 64, v57
	s_movk_i32 s67, 0x270e
	v_mov_b32_e32 v35, 1
	s_xor_b64 s[54:55], vcc, -1
	s_mov_b32 s68, 0x7f800000
	s_mov_b32 s69, 0x47600000
	;; [unrolled: 1-line block ×3, first 2 shown]
	s_movk_i32 s71, 0x1000
	v_mov_b32_e32 v59, 0xc7600000
	v_mov_b64_e32 v[14:15], v[40:41]
	v_accvgpr_write_b32 a3, v61
	v_accvgpr_write_b32 a7, v21
	;; [unrolled: 1-line block ×11, first 2 shown]
	v_cmp_ne_u32_sdwa s[52:53], v0, v57 src0_sel:WORD_0 src1_sel:DWORD
	v_accvgpr_read_b32 v0, a1
	v_and_b32_e32 v0, 63, v0
	v_cmp_eq_u32_e64 s[6:7], 0, v0
	v_ashrrev_i32_e32 v0, 31, v61
	v_lshrrev_b32_e32 v0, 26, v0
	v_add_u32_e32 v0, v61, v0
	v_and_b32_e32 v2, 0xffffffc0, v0
	v_ashrrev_i32_e32 v58, 6, v0
	v_sub_u32_e32 v2, v61, v2
	v_lshlrev_b32_e32 v0, 13, v58
	v_lshl_add_u32 v22, v2, 4, v0
	v_mov_b32_e32 v0, 0xffffe000
	v_lshl_add_u32 v0, v54, 13, v0
	v_cmp_lt_i32_e64 s[12:13], v2, v1
	v_ashrrev_i32_e32 v1, 31, v0
	v_cmp_gt_i32_e64 s[10:11], 1, v2
	scratch_store_dword off, v2, s33 offset:200 ; 4-byte Folded Spill
	v_lshl_add_u64 v[2:3], v[0:1], 0, s[14:15]
	v_add_u32_e32 v0, 0xfffffc00, v60
	v_ashrrev_i32_e32 v1, 31, v0
	s_mov_b64 s[14:15], 0x400
	v_lshl_add_u64 v[32:33], v[0:1], 0, s[14:15]
	v_mov_b32_e32 v0, 0xfffff800
	v_ashrrev_i32_e32 v23, 31, v22
	v_lshl_add_u32 v0, v54, 11, v0
	v_ashrrev_i32_e32 v1, 31, v0
	s_mov_b64 s[14:15], 0x800
	v_accvgpr_write_b32 a39, v23
	v_accvgpr_write_b32 a41, v3
	;; [unrolled: 1-line block ×3, first 2 shown]
	v_lshl_add_u64 v[50:51], v[0:1], 0, s[14:15]
	v_cmp_ne_u64_e64 s[14:15], 0, v[48:49]
	v_accvgpr_write_b32 a37, v58
	v_accvgpr_write_b32 a38, v22
	;; [unrolled: 1-line block ×4, first 2 shown]
	s_branch .LBB6_397
.LBB6_394:                              ;   in Loop: Header=BB6_397 Depth=1
	s_or_b64 exec, exec, s[20:21]
	v_lshl_add_u64 v[28:29], v[28:29], 0, 1
	flat_store_dwordx2 v[30:31], v[28:29] sc0 sc1
.LBB6_395:                              ;   in Loop: Header=BB6_397 Depth=1
	s_or_b64 exec, exec, s[16:17]
.LBB6_396:                              ;   in Loop: Header=BB6_397 Depth=1
	s_or_b64 exec, exec, s[18:19]
	v_lshl_add_u64 v[40:41], v[40:41], 0, v[16:17]
	v_cmp_ge_u64_e32 vcc, v[40:41], v[20:21]
	s_or_b64 s[50:51], vcc, s[50:51]
	s_andn2_b64 exec, exec, s[50:51]
	s_cbranch_execz .LBB6_562
.LBB6_397:                              ; =>This Loop Header: Depth=1
                                        ;     Child Loop BB6_406 Depth 2
                                        ;     Child Loop BB6_430 Depth 2
	;; [unrolled: 1-line block ×10, first 2 shown]
	v_sub_co_u32_e32 v0, vcc, v20, v40
	v_mov_b32_e32 v2, 0
	s_nop 0
	v_subb_co_u32_e32 v1, vcc, v21, v41, vcc
	v_cmp_lt_u64_e32 vcc, v[16:17], v[0:1]
	s_nop 1
	v_cndmask_b32_e64 v13, v1, 0, vcc
	v_cndmask_b32_e32 v12, v0, v16, vcc
	v_add_u32_e32 v0, 15, v12
	v_cmp_eq_u64_e32 vcc, 0, v[12:13]
	v_and_b32_e32 v0, 0x7ffffff0, v0
	s_or_b64 s[56:57], s[2:3], vcc
	v_max_i32_e32 v18, s66, v0
	s_xor_b64 s[16:17], s[56:57], -1
	s_and_saveexec_b64 s[58:59], s[16:17]
	s_cbranch_execz .LBB6_515
; %bb.398:                              ;   in Loop: Header=BB6_397 Depth=1
	s_and_saveexec_b64 s[16:17], s[0:1]
	s_cbranch_execz .LBB6_400
; %bb.399:                              ;   in Loop: Header=BB6_397 Depth=1
	s_trap 2
	ds_read_b64 v[0:1], v0
	v_mov_b32_e32 v2, v19
	v_mov_b32_e32 v3, v19
	s_waitcnt lgkmcnt(0)
	v_lshl_add_u64 v[0:1], v[0:1], 0, v[24:25]
	v_lshl_add_u64 v[0:1], v[0:1], 0, v[40:41]
	ds_write_b64 v0, v[0:1]
	ds_write_b64 v0, v[2:3]
.LBB6_400:                              ;   in Loop: Header=BB6_397 Depth=1
	s_or_b64 exec, exec, s[16:17]
	v_and_b32_e32 v0, 8, v56
	v_cmp_ne_u32_e32 vcc, 0, v0
	s_mov_b64 s[18:19], -1
	v_lshl_add_u64 v[0:1], v[28:29], 0, 1
	s_and_saveexec_b64 s[16:17], vcc
	s_cbranch_execz .LBB6_412
; %bb.401:                              ;   in Loop: Header=BB6_397 Depth=1
	v_lshl_add_u64 v[2:3], v[38:39], 0, 8
	v_lshl_add_u64 v[10:11], v[28:29], 0, 1
	v_cmp_lt_u64_e32 vcc, v[2:3], v[10:11]
	v_mov_b32_e32 v2, 1
	s_and_saveexec_b64 s[18:19], vcc
	s_cbranch_execz .LBB6_411
; %bb.402:                              ;   in Loop: Header=BB6_397 Depth=1
	s_mov_b64 s[20:21], 0
	v_mov_b32_e32 v2, 0
                                        ; implicit-def: $sgpr22_sgpr23
	s_branch .LBB6_406
.LBB6_403:                              ;   in Loop: Header=BB6_406 Depth=2
	s_or_b64 exec, exec, s[30:31]
	v_mov_b32_e32 v3, 0
	s_orn2_b64 s[28:29], s[28:29], exec
.LBB6_404:                              ;   in Loop: Header=BB6_406 Depth=2
	s_or_b64 exec, exec, s[26:27]
	s_andn2_b64 s[22:23], s[22:23], exec
	s_and_b64 s[26:27], s[28:29], exec
	s_or_b64 s[22:23], s[22:23], s[26:27]
	v_mov_b32_e32 v2, v3
.LBB6_405:                              ;   in Loop: Header=BB6_406 Depth=2
	s_or_b64 exec, exec, s[24:25]
	s_waitcnt vmcnt(0) lgkmcnt(0)
	v_lshl_add_u64 v[4:5], v[38:39], 0, 8
	v_cmp_ge_u64_e32 vcc, v[4:5], v[10:11]
	s_xor_b64 s[24:25], s[22:23], -1
	s_or_b64 s[24:25], s[24:25], vcc
	s_and_b64 s[24:25], exec, s[24:25]
	s_or_b64 s[20:21], s[24:25], s[20:21]
	s_andn2_b64 exec, exec, s[20:21]
	s_cbranch_execz .LBB6_410
.LBB6_406:                              ;   Parent Loop BB6_397 Depth=1
                                        ; =>  This Inner Loop Header: Depth=2
	s_sleep 1
	flat_load_dwordx2 v[38:39], v[30:31] sc0 sc1
	v_and_b32_e32 v3, 64, v56
	v_cmp_eq_u32_e32 vcc, 0, v3
	s_andn2_b64 s[22:23], s[22:23], exec
	s_and_saveexec_b64 s[24:25], vcc
	s_cbranch_execz .LBB6_405
; %bb.407:                              ;   in Loop: Header=BB6_406 Depth=2
	v_add_u32_e32 v3, 1, v2
	v_cmp_lt_i32_e32 vcc, s67, v2
	s_mov_b64 s[28:29], -1
	s_and_saveexec_b64 s[26:27], vcc
	s_cbranch_execz .LBB6_404
; %bb.408:                              ;   in Loop: Header=BB6_406 Depth=2
	s_trap 2
	ds_read_b64 v[2:3], v0
	s_waitcnt vmcnt(0) lgkmcnt(0)
	flat_load_dword v2, v[2:3] sc0 sc1
	s_waitcnt vmcnt(0) lgkmcnt(0)
	buffer_inv sc0 sc1
	v_cmp_ne_u32_e32 vcc, 0, v2
	s_and_saveexec_b64 s[30:31], vcc
	s_cbranch_execz .LBB6_403
; %bb.409:                              ;   in Loop: Header=BB6_406 Depth=2
	v_or_b32_e32 v56, 64, v56
	s_xor_b64 s[28:29], exec, -1
	ds_write_b32 v0, v2
	s_trap 2
	s_branch .LBB6_403
.LBB6_410:                              ;   in Loop: Header=BB6_397 Depth=1
	s_or_b64 exec, exec, s[20:21]
	v_and_b32_e32 v2, 8, v56
.LBB6_411:                              ;   in Loop: Header=BB6_397 Depth=1
	s_or_b64 exec, exec, s[18:19]
	v_cmp_eq_u32_e32 vcc, 0, v2
	s_orn2_b64 s[18:19], vcc, exec
	;;#ASMSTART
	s_wakeup
	;;#ASMEND
.LBB6_412:                              ;   in Loop: Header=BB6_397 Depth=1
	s_or_b64 exec, exec, s[16:17]
	s_xor_b64 s[16:17], s[18:19], -1
	v_min_u32_e32 v18, v18, v12
	s_and_saveexec_b64 s[18:19], s[16:17]
	s_cbranch_execz .LBB6_422
; %bb.413:                              ;   in Loop: Header=BB6_397 Depth=1
	v_and_b32_e32 v2, 0x100, v56
	v_cmp_ne_u32_e32 vcc, 0, v2
	v_and_b32_e32 v2, 7, v28
	s_mov_b64 s[16:17], -1
                                        ; implicit-def: $vgpr8_vgpr9
	s_and_saveexec_b64 s[20:21], vcc
	s_cbranch_execz .LBB6_417
; %bb.414:                              ;   in Loop: Header=BB6_397 Depth=1
	v_mad_u64_u32 v[10:11], s[16:17], v2, 24, v[26:27]
	flat_load_dword v3, v[10:11]
                                        ; implicit-def: $vgpr8_vgpr9
	s_waitcnt vmcnt(0) lgkmcnt(0)
	v_cmp_ne_u32_e32 vcc, 1, v3
	v_cmp_eq_u32_e64 s[16:17], 1, v3
	flat_store_dwordx2 v[10:11], v[18:19] offset:8
	s_and_saveexec_b64 s[22:23], s[16:17]
	s_cbranch_execz .LBB6_416
; %bb.415:                              ;   in Loop: Header=BB6_397 Depth=1
	flat_load_dword v8, v[10:11] offset:4 sc0 sc1
	s_waitcnt vmcnt(0) lgkmcnt(0)
	v_ashrrev_i32_e32 v9, 31, v8
.LBB6_416:                              ;   in Loop: Header=BB6_397 Depth=1
	s_or_b64 exec, exec, s[22:23]
	s_orn2_b64 s[16:17], vcc, exec
.LBB6_417:                              ;   in Loop: Header=BB6_397 Depth=1
	s_or_b64 exec, exec, s[20:21]
	s_and_saveexec_b64 s[20:21], s[16:17]
; %bb.418:                              ;   in Loop: Header=BB6_397 Depth=1
	v_mad_i64_i32 v[8:9], s[16:17], v2, v34, 0
; %bb.419:                              ;   in Loop: Header=BB6_397 Depth=1
	s_or_b64 exec, exec, s[20:21]
	v_lshl_add_u64 v[2:3], v[36:37], 0, v[8:9]
	ds_write_b64 v0, v[2:3] offset:784
	v_and_b32_e32 v2, 0x2000, v56
	v_cmp_ne_u32_e32 vcc, 0, v2
	s_and_saveexec_b64 s[16:17], vcc
	s_cbranch_execz .LBB6_421
; %bb.420:                              ;   in Loop: Header=BB6_397 Depth=1
	ds_read_b64 v[2:3], v0 offset:584
	s_waitcnt lgkmcnt(0)
	v_lshl_add_u64 v[2:3], v[2:3], 0, 1
	ds_write_b64 v0, v[2:3] offset:584
.LBB6_421:                              ;   in Loop: Header=BB6_397 Depth=1
	s_or_b64 exec, exec, s[16:17]
	v_mov_b64_e32 v[28:29], v[0:1]
.LBB6_422:                              ;   in Loop: Header=BB6_397 Depth=1
	s_or_b64 exec, exec, s[18:19]
	s_and_saveexec_b64 s[16:17], s[4:5]
	s_cbranch_execz .LBB6_441
; %bb.423:                              ;   in Loop: Header=BB6_397 Depth=1
	s_and_saveexec_b64 s[18:19], s[52:53]
	s_xor_b64 s[18:19], exec, s[18:19]
	s_cbranch_execz .LBB6_438
; %bb.424:                              ;   in Loop: Header=BB6_397 Depth=1
	s_and_saveexec_b64 s[20:21], s[6:7]
	s_cbranch_execz .LBB6_437
; %bb.425:                              ;   in Loop: Header=BB6_397 Depth=1
	s_mov_b64 s[24:25], exec
	v_mbcnt_lo_u32_b32 v0, s24, 0
	v_mbcnt_hi_u32_b32 v0, s25, v0
	v_cmp_eq_u32_e32 vcc, 0, v0
	s_waitcnt lgkmcnt(0)
	s_and_saveexec_b64 s[22:23], vcc
	s_cbranch_execz .LBB6_427
; %bb.426:                              ;   in Loop: Header=BB6_397 Depth=1
	s_bcnt1_i32_b64 s24, s[24:25]
	v_mov_b32_e32 v0, s24
	v_mov_b32_e32 v1, v19
	ds_add_u64 v0, v[0:1]
	s_trap 2
.LBB6_427:                              ;   in Loop: Header=BB6_397 Depth=1
	s_or_b64 exec, exec, s[22:23]
	s_trap 2
	ds_read_b64 v[0:1], v0
	v_lshl_add_u64 v[14:15], v[14:15], 0, v[54:55]
	s_waitcnt lgkmcnt(0)
	v_cmp_lt_u64_e32 vcc, v[0:1], v[14:15]
	s_and_saveexec_b64 s[22:23], vcc
	s_cbranch_execz .LBB6_436
; %bb.428:                              ;   in Loop: Header=BB6_397 Depth=1
	s_mov_b32 s36, 0
	s_mov_b64 s[24:25], 0
                                        ; implicit-def: $sgpr26_sgpr27
                                        ; implicit-def: $sgpr28_sgpr29
	s_branch .LBB6_430
.LBB6_429:                              ;   in Loop: Header=BB6_430 Depth=2
	s_or_b64 exec, exec, s[34:35]
	s_and_b64 vcc, exec, vcc
	s_or_b64 s[24:25], vcc, s[24:25]
	s_andn2_b64 s[26:27], s[26:27], exec
	s_and_b64 vcc, s[28:29], exec
	s_or_b64 s[26:27], s[26:27], vcc
	s_andn2_b64 exec, exec, s[24:25]
	s_cbranch_execz .LBB6_434
.LBB6_430:                              ;   Parent Loop BB6_397 Depth=1
                                        ; =>  This Inner Loop Header: Depth=2
	s_add_i32 s36, s36, 1
	s_cmpk_lg_i32 s36, 0x2710
	s_cselect_b64 s[30:31], -1, 0
	s_and_b64 vcc, exec, s[30:31]
                                        ; implicit-def: $sgpr34_sgpr35
	s_cbranch_vccnz .LBB6_432
; %bb.431:                              ;   in Loop: Header=BB6_430 Depth=2
	s_trap 2
	ds_read_b64 v[0:1], v0
	s_andn2_b64 s[30:31], s[30:31], exec
	s_mov_b32 s36, 0
	s_mov_b64 s[34:35], -1
	s_waitcnt vmcnt(0) lgkmcnt(0)
	flat_load_dword v0, v[0:1] sc0 sc1
	s_waitcnt vmcnt(0) lgkmcnt(0)
	buffer_inv sc0 sc1
	v_cmp_eq_u32_e32 vcc, 0, v0
	s_and_b64 vcc, vcc, exec
	s_or_b64 s[30:31], s[30:31], vcc
.LBB6_432:                              ;   in Loop: Header=BB6_430 Depth=2
	s_andn2_b64 s[28:29], s[28:29], exec
	s_and_b64 s[34:35], s[34:35], exec
	s_mov_b64 vcc, -1
	s_or_b64 s[28:29], s[28:29], s[34:35]
	s_and_saveexec_b64 s[34:35], s[30:31]
	s_cbranch_execz .LBB6_429
; %bb.433:                              ;   in Loop: Header=BB6_430 Depth=2
	s_sleep 1
	s_trap 2
	ds_read_b64 v[0:1], v0
	s_andn2_b64 s[28:29], s[28:29], exec
	s_waitcnt lgkmcnt(0)
	v_cmp_ge_u64_e32 vcc, v[0:1], v[14:15]
	s_orn2_b64 vcc, vcc, exec
	s_branch .LBB6_429
.LBB6_434:                              ;   in Loop: Header=BB6_397 Depth=1
	s_or_b64 exec, exec, s[24:25]
	s_and_saveexec_b64 s[24:25], s[26:27]
	s_xor_b64 s[24:25], exec, s[24:25]
	s_cbranch_execz .LBB6_436
; %bb.435:                              ;   in Loop: Header=BB6_397 Depth=1
	ds_write_b32 v0, v35
	s_trap 2
.LBB6_436:                              ;   in Loop: Header=BB6_397 Depth=1
	s_or_b64 exec, exec, s[22:23]
	;;#ASMSTART
	s_wakeup
	;;#ASMEND
.LBB6_437:                              ;   in Loop: Header=BB6_397 Depth=1
	s_or_b64 exec, exec, s[20:21]
.LBB6_438:                              ;   in Loop: Header=BB6_397 Depth=1
	s_andn2_saveexec_b64 s[18:19], s[18:19]
	s_cbranch_execz .LBB6_440
; %bb.439:                              ;   in Loop: Header=BB6_397 Depth=1
	s_waitcnt lgkmcnt(0)
	s_barrier
.LBB6_440:                              ;   in Loop: Header=BB6_397 Depth=1
	s_or_b64 exec, exec, s[18:19]
.LBB6_441:                              ;   in Loop: Header=BB6_397 Depth=1
	s_or_b64 exec, exec, s[16:17]
	s_trap 2
	ds_read_b32 v0, v0
	v_and_b32_e32 v1, 0x4000, v56
	v_cmp_ne_u32_e32 vcc, 0, v1
	s_and_b64 s[18:19], s[54:55], vcc
	s_and_saveexec_b64 s[16:17], s[18:19]
	s_cbranch_execz .LBB6_460
; %bb.442:                              ;   in Loop: Header=BB6_397 Depth=1
	s_and_saveexec_b64 s[18:19], s[52:53]
	s_xor_b64 s[18:19], exec, s[18:19]
	s_cbranch_execz .LBB6_457
; %bb.443:                              ;   in Loop: Header=BB6_397 Depth=1
	s_and_saveexec_b64 s[20:21], s[6:7]
	s_cbranch_execz .LBB6_456
; %bb.444:                              ;   in Loop: Header=BB6_397 Depth=1
	s_mov_b64 s[24:25], exec
	v_mbcnt_lo_u32_b32 v1, s24, 0
	v_mbcnt_hi_u32_b32 v1, s25, v1
	v_cmp_eq_u32_e32 vcc, 0, v1
	s_waitcnt lgkmcnt(0)
	s_and_saveexec_b64 s[22:23], vcc
	s_cbranch_execz .LBB6_446
; %bb.445:                              ;   in Loop: Header=BB6_397 Depth=1
	s_bcnt1_i32_b64 s24, s[24:25]
	v_mov_b32_e32 v2, s24
	v_mov_b32_e32 v3, v19
	ds_add_u64 v0, v[2:3]
	s_trap 2
.LBB6_446:                              ;   in Loop: Header=BB6_397 Depth=1
	s_or_b64 exec, exec, s[22:23]
	s_trap 2
	ds_read_b64 v[2:3], v0
	v_lshl_add_u64 v[14:15], v[14:15], 0, v[54:55]
	s_waitcnt lgkmcnt(0)
	v_cmp_lt_u64_e32 vcc, v[2:3], v[14:15]
	s_and_saveexec_b64 s[22:23], vcc
	s_cbranch_execz .LBB6_455
; %bb.447:                              ;   in Loop: Header=BB6_397 Depth=1
	s_mov_b32 s36, 0
	s_mov_b64 s[24:25], 0
                                        ; implicit-def: $sgpr26_sgpr27
                                        ; implicit-def: $sgpr28_sgpr29
	s_branch .LBB6_449
.LBB6_448:                              ;   in Loop: Header=BB6_449 Depth=2
	s_or_b64 exec, exec, s[34:35]
	s_and_b64 vcc, exec, vcc
	s_or_b64 s[24:25], vcc, s[24:25]
	s_andn2_b64 s[26:27], s[26:27], exec
	s_and_b64 vcc, s[28:29], exec
	s_or_b64 s[26:27], s[26:27], vcc
	s_andn2_b64 exec, exec, s[24:25]
	s_cbranch_execz .LBB6_453
.LBB6_449:                              ;   Parent Loop BB6_397 Depth=1
                                        ; =>  This Inner Loop Header: Depth=2
	s_add_i32 s36, s36, 1
	s_cmpk_lg_i32 s36, 0x2710
	s_cselect_b64 s[30:31], -1, 0
	s_and_b64 vcc, exec, s[30:31]
                                        ; implicit-def: $sgpr34_sgpr35
	s_cbranch_vccnz .LBB6_451
; %bb.450:                              ;   in Loop: Header=BB6_449 Depth=2
	s_trap 2
	ds_read_b64 v[2:3], v0
	s_andn2_b64 s[30:31], s[30:31], exec
	s_mov_b32 s36, 0
	s_mov_b64 s[34:35], -1
	s_waitcnt vmcnt(0) lgkmcnt(0)
	flat_load_dword v1, v[2:3] sc0 sc1
	s_waitcnt vmcnt(0) lgkmcnt(0)
	buffer_inv sc0 sc1
	v_cmp_eq_u32_e32 vcc, 0, v1
	s_and_b64 vcc, vcc, exec
	s_or_b64 s[30:31], s[30:31], vcc
.LBB6_451:                              ;   in Loop: Header=BB6_449 Depth=2
	s_andn2_b64 s[28:29], s[28:29], exec
	s_and_b64 s[34:35], s[34:35], exec
	s_mov_b64 vcc, -1
	s_or_b64 s[28:29], s[28:29], s[34:35]
	s_and_saveexec_b64 s[34:35], s[30:31]
	s_cbranch_execz .LBB6_448
; %bb.452:                              ;   in Loop: Header=BB6_449 Depth=2
	s_sleep 1
	s_trap 2
	ds_read_b64 v[2:3], v0
	s_andn2_b64 s[28:29], s[28:29], exec
	s_waitcnt lgkmcnt(0)
	v_cmp_ge_u64_e32 vcc, v[2:3], v[14:15]
	s_orn2_b64 vcc, vcc, exec
	s_branch .LBB6_448
.LBB6_453:                              ;   in Loop: Header=BB6_397 Depth=1
	s_or_b64 exec, exec, s[24:25]
	s_and_saveexec_b64 s[24:25], s[26:27]
	s_xor_b64 s[24:25], exec, s[24:25]
	s_cbranch_execz .LBB6_455
; %bb.454:                              ;   in Loop: Header=BB6_397 Depth=1
	ds_write_b32 v0, v35
	s_trap 2
.LBB6_455:                              ;   in Loop: Header=BB6_397 Depth=1
	s_or_b64 exec, exec, s[22:23]
	;;#ASMSTART
	s_wakeup
	;;#ASMEND
.LBB6_456:                              ;   in Loop: Header=BB6_397 Depth=1
	s_or_b64 exec, exec, s[20:21]
.LBB6_457:                              ;   in Loop: Header=BB6_397 Depth=1
	s_andn2_saveexec_b64 s[18:19], s[18:19]
	s_cbranch_execz .LBB6_459
; %bb.458:                              ;   in Loop: Header=BB6_397 Depth=1
	s_waitcnt lgkmcnt(0)
	s_barrier
.LBB6_459:                              ;   in Loop: Header=BB6_397 Depth=1
	s_or_b64 exec, exec, s[18:19]
.LBB6_460:                              ;   in Loop: Header=BB6_397 Depth=1
	s_or_b64 exec, exec, s[16:17]
	s_trap 2
	s_waitcnt lgkmcnt(0)
	ds_read_b64 v[2:3], v0
	s_waitcnt lgkmcnt(0)
	v_readfirstlane_b32 s16, v2
	v_readfirstlane_b32 s17, v3
	s_cmp_eq_u64 s[16:17], 0
	s_cselect_b64 s[16:17], -1, 0
	s_or_b64 s[18:19], s[16:17], s[16:17]
	s_mov_b64 s[16:17], 0
	s_and_b64 vcc, exec, s[18:19]
	s_cbranch_vccnz .LBB6_489
; %bb.461:                              ;   in Loop: Header=BB6_397 Depth=1
	s_mov_b64 s[16:17], -1
	s_and_saveexec_b64 s[18:19], s[10:11]
	s_cbranch_execz .LBB6_463
; %bb.462:                              ;   in Loop: Header=BB6_397 Depth=1
	ds_read_b32 v1, v0 offset:720
	s_waitcnt lgkmcnt(0)
	v_and_b32_e32 v1, 15, v1
	v_cmp_eq_u32_e32 vcc, 0, v1
	s_orn2_b64 s[16:17], vcc, exec
.LBB6_463:                              ;   in Loop: Header=BB6_397 Depth=1
	s_or_b64 exec, exec, s[18:19]
	s_and_saveexec_b64 s[18:19], s[12:13]
	s_cbranch_execz .LBB6_465
; %bb.464:                              ;   in Loop: Header=BB6_397 Depth=1
	ds_read_b32 v1, v0 offset:784
	s_waitcnt lgkmcnt(0)
	v_and_b32_e32 v1, 15, v1
	v_cmp_eq_u32_e32 vcc, 0, v1
	s_and_b64 s[20:21], s[16:17], vcc
	s_andn2_b64 s[16:17], s[16:17], exec
	s_and_b64 s[20:21], s[20:21], exec
	s_or_b64 s[16:17], s[16:17], s[20:21]
.LBB6_465:                              ;   in Loop: Header=BB6_397 Depth=1
	s_or_b64 exec, exec, s[18:19]
	v_cmp_eq_u32_e32 vcc, 0, v0
	s_xor_b64 s[16:17], s[16:17], -1
	v_cndmask_b32_e64 v0, 0, 1, s[16:17]
	v_cndmask_b32_e32 v9, 0, v18, vcc
	v_mov_b32_e32 v62, 0
	s_mov_b64 s[18:19], -1
	;;#ASMSTART
	;;#ASMEND
	v_mov_b32_e32 v6, v9
	v_cmp_ne_u32_e32 vcc, 0, v0
	v_mov_b32_e32 v4, v61
	v_mov_b32_e32 v10, v58
	s_cbranch_vccz .LBB6_467
; %bb.466:                              ;   in Loop: Header=BB6_397 Depth=1
	s_and_saveexec_b64 s[16:17], s[18:19]
	s_cbranch_execnz .LBB6_480
	s_branch .LBB6_488
.LBB6_467:                              ;   in Loop: Header=BB6_397 Depth=1
	v_lshrrev_b32_e32 v0, 13, v9
	v_sub_u32_e32 v42, v0, v58
	v_cmp_lt_i32_e32 vcc, 0, v42
	s_and_saveexec_b64 s[16:17], vcc
	s_cbranch_execz .LBB6_471
; %bb.468:                              ;   in Loop: Header=BB6_397 Depth=1
	s_trap 2
	ds_read_b32 v0, v0
	v_accvgpr_write_b32 a51, v41
	v_accvgpr_write_b32 a50, v40
	;; [unrolled: 1-line block ×4, first 2 shown]
	s_waitcnt lgkmcnt(0)
	ds_read_b64 v[40:41], v0
	v_and_b32_e32 v0, 0xff, v0
	v_cvt_f32_bf8_sdwa v49, v0 src0_sel:BYTE_0
	v_accvgpr_write_b32 a27, v15
	v_accvgpr_write_b32 a24, v38
	;; [unrolled: 1-line block ×14, first 2 shown]
	s_mov_b64 s[18:19], 0
	s_waitcnt lgkmcnt(0)
	v_mov_b64_e32 v[56:57], v[40:41]
.LBB6_469:                              ;   Parent Loop BB6_397 Depth=1
                                        ; =>  This Inner Loop Header: Depth=2
	s_waitcnt vmcnt(0)
	scratch_store_dwordx2 off, v[40:41], s33 offset:188 ; 8-byte Folded Spill
	v_lshl_add_u64 v[18:19], v[22:23], 0, v[56:57]
	global_load_dwordx4 v[14:17], v[18:19], off nt
	global_load_dwordx4 v[10:13], v[18:19], off offset:1024 nt
	v_lshl_add_u64 v[46:47], v[22:23], 0, v[40:41]
	v_mov_b32_e32 v21, 0
	v_mov_b32_e32 v36, 0
	v_accvgpr_write_b32 a21, v42
	v_mov_b32_e32 v20, 0
	v_mov_b32_e32 v37, 0
	;; [unrolled: 1-line block ×10, first 2 shown]
	v_accvgpr_write_b32 a54, v56
	v_accvgpr_write_b32 a55, v57
	s_waitcnt vmcnt(0)
	v_and_b32_e32 v23, 0xff, v14
	v_lshrrev_b32_e32 v22, 24, v14
	v_bfe_u32 v33, v14, 16, 8
	v_and_b32_e32 v25, 0xff, v15
	v_bfe_u32 v26, v15, 8, 8
	v_bfe_u32 v34, v15, 16, 8
	;; [unrolled: 1-line block ×6, first 2 shown]
	v_and_b32_e32 v41, 0xff, v11
	v_accvgpr_write_b32 a43, v0
	v_lshrrev_b32_e32 v50, 24, v11
	v_bfe_u32 v51, v11, 16, 8
	v_and_b32_e32 v31, 0xff, v12
	v_bfe_u32 v30, v12, 8, 8
	v_lshrrev_b32_e32 v0, 24, v12
	v_bfe_u32 v1, v12, 16, 8
	v_and_b32_e32 v3, 0xff, v13
	v_bfe_u32 v8, v13, 8, 8
	v_lshrrev_b32_e32 v2, 24, v13
	v_bfe_u32 v60, v13, 16, 8
	v_cvt_f32_bf8_sdwa v4, v23 src0_sel:BYTE_0
	v_cvt_f32_bf8_sdwa v11, v33 src0_sel:BYTE_0
	;; [unrolled: 1-line block ×9, first 2 shown]
	global_load_dwordx4 v[32:35], v[18:19], off offset:2048 nt
	v_bfe_u32 v24, v14, 8, 8
	v_cvt_f32_bf8_sdwa v5, v24 src0_sel:BYTE_0
	v_and_b32_e32 v27, 0xff, v16
	v_and_b32_e32 v29, 0xff, v17
	v_mul_f32_e32 v4, v49, v4
	v_cvt_f32_bf8_sdwa v24, v27 src0_sel:BYTE_0
	v_cvt_f32_bf8_sdwa v27, v29 src0_sel:BYTE_0
	v_mul_f32_e32 v5, v49, v5
	v_med3_f32 v29, v4, s69, v59
	v_cmp_nlg_f32_e64 vcc, |v4|, s68
	v_lshrrev_b32_e32 v14, 24, v15
	v_mul_f32_e32 v11, v49, v11
	v_cndmask_b32_e32 v4, v29, v4, vcc
	v_med3_f32 v29, v5, s69, v59
	v_cmp_nlg_f32_e64 vcc, |v5|, s68
	v_cvt_f32_bf8_sdwa v14, v14 src0_sel:BYTE_0
	v_mul_f32_e32 v12, v49, v12
	v_cndmask_b32_e32 v5, v29, v5, vcc
	v_med3_f32 v29, v11, s69, v59
	v_cmp_nlg_f32_e64 vcc, |v11|, s68
	v_mul_f32_e32 v13, v49, v13
	v_mul_f32_e32 v22, v49, v22
	v_cndmask_b32_e32 v11, v29, v11, vcc
	v_med3_f32 v29, v12, s69, v59
	v_cmp_nlg_f32_e64 vcc, |v12|, s68
	v_lshrrev_b32_e32 v15, 24, v16
	v_mul_f32_e32 v23, v49, v23
	v_cndmask_b32_e32 v12, v29, v12, vcc
	v_med3_f32 v29, v13, s69, v59
	v_cmp_nlg_f32_e64 vcc, |v13|, s68
	v_cvt_f32_bf8_sdwa v15, v15 src0_sel:BYTE_0
	v_mul_f32_e32 v14, v49, v14
	v_cndmask_b32_e32 v13, v29, v13, vcc
	v_med3_f32 v29, v22, s69, v59
	v_cmp_nlg_f32_e64 vcc, |v22|, s68
	v_mul_f32_e32 v24, v49, v24
	v_lshrrev_b32_e32 v16, 24, v17
	v_cndmask_b32_e32 v22, v29, v22, vcc
	v_med3_f32 v29, v23, s69, v59
	v_cmp_nlg_f32_e64 vcc, |v23|, s68
	v_bfe_u32 v17, v17, 16, 8
	v_mul_f32_e32 v25, v49, v25
	v_cndmask_b32_e32 v23, v29, v23, vcc
	v_med3_f32 v29, v14, s69, v59
	v_cmp_nlg_f32_e64 vcc, |v14|, s68
	v_cvt_f32_bf8_sdwa v17, v17 src0_sel:BYTE_0
	v_mul_f32_e32 v26, v49, v26
	v_cndmask_b32_e32 v14, v29, v14, vcc
	v_med3_f32 v29, v24, s69, v59
	v_cmp_nlg_f32_e64 vcc, |v24|, s68
	v_cvt_f32_bf8_sdwa v16, v16 src0_sel:BYTE_0
	v_mul_f32_e32 v15, v49, v15
	v_cndmask_b32_e32 v24, v29, v24, vcc
	v_med3_f32 v29, v25, s69, v59
	v_cmp_nlg_f32_e64 vcc, |v25|, s68
	v_mul_f32_e32 v27, v49, v27
	v_and_b32_e32 v6, 0xff, v10
	v_cndmask_b32_e32 v25, v29, v25, vcc
	v_med3_f32 v29, v26, s69, v59
	v_cmp_nlg_f32_e64 vcc, |v26|, s68
	v_bfe_u32 v42, v10, 8, 8
	v_lshrrev_b32_e32 v55, 24, v10
	v_cndmask_b32_e32 v26, v29, v26, vcc
	v_med3_f32 v29, v15, s69, v59
	v_cmp_nlg_f32_e64 vcc, |v15|, s68
	v_bfe_u32 v43, v10, 16, 8
	v_mov_b32_e32 v10, 0
	v_mul_f32_e32 v28, v49, v28
	v_cndmask_b32_e32 v15, v29, v15, vcc
	v_med3_f32 v29, v27, s69, v59
	v_cmp_nlg_f32_e64 vcc, |v27|, s68
	v_mul_f32_e32 v17, v49, v17
	v_cvt_pk_bf8_f32 v21, v5, v5
	v_cndmask_b32_e32 v27, v29, v27, vcc
	v_med3_f32 v29, v28, s69, v59
	v_cmp_nlg_f32_e64 vcc, |v28|, s68
	v_cvt_pk_bf8_f32 v36, v11, v11
	v_cvt_pk_bf8_f32 v10, v25, v25
	v_mul_f32_e32 v16, v49, v16
	v_cndmask_b32_e32 v53, v29, v28, vcc
	v_med3_f32 v28, v17, s69, v59
	v_cmp_nlg_f32_e64 vcc, |v17|, s68
	v_cvt_pk_bf8_f32 v20, v4, v4
	v_cvt_pk_bf8_f32 v37, v12, v12
	;; [unrolled: 1-line block ×4, first 2 shown]
	v_cndmask_b32_e32 v17, v28, v17, vcc
	v_med3_f32 v28, v16, s69, v59
	v_cmp_nlg_f32_e64 vcc, |v16|, s68
	v_mov_b32_e32 v11, 0
	v_mov_b32_e32 v12, 0
	v_cvt_pk_bf8_f32 v39, v22, v22
	v_cvt_pk_bf8_f32 v40, v15, v15
	v_cndmask_b32_e32 v16, v28, v16, vcc
	v_cvt_pk_bf8_f32 v38, v13, v13
	v_mov_b32_e32 v13, 0
	v_cvt_pk_bf8_f32 v11, v53, v53
	v_cvt_pk_bf8_f32 v12, v17, v17
	;; [unrolled: 1-line block ×4, first 2 shown]
	global_load_dwordx4 v[26:29], v[18:19], off offset:3072 nt
	v_cvt_pk_bf8_f32 v13, v16, v16
	v_lshlrev_b32_e32 v14, 8, v21
	v_and_b32_e32 v15, 0xff, v36
	v_lshlrev_b32_e32 v10, 8, v10
	v_cvt_f32_bf8_sdwa v6, v6 src0_sel:BYTE_0
	v_perm_b32 v14, v14, v20, s70
	v_lshlrev_b32_e32 v16, 24, v37
	v_lshlrev_b32_e32 v15, 16, v15
	v_perm_b32 v7, v10, v7, s70
	v_and_b32_e32 v10, 0xff, v54
	v_lshlrev_b32_e32 v17, 8, v39
	v_or3_b32 v36, v16, v15, v14
	v_lshlrev_b32_e32 v14, 24, v40
	v_lshlrev_b32_e32 v10, 16, v10
	v_add_co_u32_e32 v4, vcc, s71, v18
	v_perm_b32 v17, v17, v38, s70
	v_lshlrev_b32_e32 v11, 8, v11
	v_or3_b32 v38, v14, v10, v7
	v_and_b32_e32 v7, 0xff, v12
	v_addc_co_u32_e32 v5, vcc, 0, v19, vcc
	v_perm_b32 v11, v11, v44, s70
	v_lshlrev_b32_e32 v10, 24, v13
	v_lshlrev_b32_e32 v7, 16, v7
	v_mul_f32_e32 v6, v49, v6
	v_cvt_pk_bf8_f32 v48, v23, v23
	v_lshlrev_b32_e32 v19, 24, v45
	v_or3_b32 v39, v10, v7, v11
	s_waitcnt vmcnt(1)
	v_and_b32_e32 v61, 0xff, v32
	v_bfe_u32 v7, v32, 8, 8
	v_lshrrev_b32_e32 v44, 24, v32
	v_bfe_u32 v45, v32, 16, 8
	v_med3_f32 v32, v6, s69, v59
	v_cmp_nlg_f32_e64 vcc, |v6|, s68
	v_and_b32_e32 v18, 0xff, v48
	v_lshlrev_b32_e32 v18, 16, v18
	v_cndmask_b32_e32 v6, v32, v6, vcc
	v_cvt_f32_bf8_sdwa v32, v42 src0_sel:BYTE_0
	global_load_dwordx4 v[22:25], v[4:5], off nt
	v_or3_b32 v37, v19, v18, v17
	global_load_dwordx4 v[18:21], v[4:5], off offset:1024 nt
	v_mul_f32_e32 v32, v49, v32
	global_load_dwordx4 v[14:17], v[4:5], off offset:2048 nt
	global_load_dwordx4 v[10:13], v[4:5], off offset:3072 nt
	v_and_b32_e32 v5, 0xff, v33
	v_bfe_u32 v62, v33, 8, 8
	v_lshrrev_b32_e32 v58, 24, v33
	v_bfe_u32 v4, v33, 16, 8
	v_med3_f32 v33, v32, s69, v59
	v_cmp_nlg_f32_e64 vcc, |v32|, s68
	global_store_dwordx4 v[46:47], v[36:39], off nt
	v_and_b32_e32 v48, 0xff, v34
	v_cndmask_b32_e32 v32, v33, v32, vcc
	v_cvt_f32_bf8_sdwa v33, v43 src0_sel:BYTE_0
	v_bfe_u32 v37, v34, 8, 8
	v_lshrrev_b32_e32 v40, 24, v34
	v_bfe_u32 v9, v34, 16, 8
	v_mul_f32_e32 v33, v49, v33
	v_med3_f32 v34, v33, s69, v59
	v_cmp_nlg_f32_e64 vcc, |v33|, s68
	v_and_b32_e32 v39, 0xff, v35
	v_bfe_u32 v53, v35, 8, 8
	v_cndmask_b32_e32 v33, v34, v33, vcc
	v_cvt_f32_bf8_sdwa v34, v55 src0_sel:BYTE_0
	v_lshrrev_b32_e32 v52, 24, v35
	v_bfe_u32 v54, v35, 16, 8
	v_cvt_f32_bf8_sdwa v50, v50 src0_sel:BYTE_0
	v_mul_f32_e32 v34, v49, v34
	v_med3_f32 v35, v34, s69, v59
	v_cmp_nlg_f32_e64 vcc, |v34|, s68
	v_mul_f32_e32 v50, v49, v50
	v_cvt_f32_bf8_sdwa v30, v30 src0_sel:BYTE_0
	v_cndmask_b32_e32 v34, v35, v34, vcc
	v_cvt_f32_bf8_sdwa v35, v41 src0_sel:BYTE_0
	v_cvt_f32_bf8_sdwa v1, v1 src0_sel:BYTE_0
	;; [unrolled: 1-line block ×3, first 2 shown]
	v_mul_f32_e32 v30, v49, v30
	v_mul_f32_e32 v35, v49, v35
	v_med3_f32 v36, v35, s69, v59
	v_cmp_nlg_f32_e64 vcc, |v35|, s68
	v_mul_f32_e32 v1, v49, v1
	v_mul_f32_e32 v0, v49, v0
	v_cndmask_b32_e32 v35, v36, v35, vcc
	v_accvgpr_read_b32 v36, a43
	v_cvt_f32_bf8_sdwa v36, v36 src0_sel:BYTE_0
	v_cvt_f32_bf8_sdwa v2, v2 src0_sel:BYTE_0
	;; [unrolled: 1-line block ×4, first 2 shown]
	v_mul_f32_e32 v36, v49, v36
	v_med3_f32 v38, v36, s69, v59
	v_cmp_nlg_f32_e64 vcc, |v36|, s68
	v_mul_f32_e32 v2, v49, v2
	v_mul_f32_e32 v5, v49, v5
	v_cndmask_b32_e32 v36, v38, v36, vcc
	v_cvt_f32_bf8_sdwa v38, v51 src0_sel:BYTE_0
	s_waitcnt vmcnt(5)
	v_bfe_u32 v55, v26, 8, 8
	v_lshrrev_b32_e32 v56, 24, v26
	v_bfe_u32 v57, v26, 16, 8
	v_mul_f32_e32 v38, v49, v38
	v_med3_f32 v51, v38, s69, v59
	v_cmp_nlg_f32_e64 vcc, |v38|, s68
	v_mul_f32_e32 v4, v49, v4
	v_and_b32_e32 v43, 0xff, v27
	v_cndmask_b32_e32 v38, v51, v38, vcc
	v_med3_f32 v51, v50, s69, v59
	v_cmp_nlg_f32_e64 vcc, |v50|, s68
	v_bfe_u32 v42, v27, 8, 8
	v_and_b32_e32 v41, 0xff, v28
	v_cndmask_b32_e32 v50, v51, v50, vcc
	v_mov_b32_e32 v51, 0
	v_cvt_pk_bf8_f32 v51, v6, v6
	v_mov_b32_e32 v6, 0
	v_cvt_pk_bf8_f32 v6, v32, v32
	;; [unrolled: 2-line block ×4, first 2 shown]
	v_lshlrev_b32_e32 v6, 8, v6
	v_and_b32_e32 v32, 0xff, v32
	v_perm_b32 v6, v6, v51, s70
	v_lshlrev_b32_e32 v33, 24, v33
	v_lshlrev_b32_e32 v32, 16, v32
	v_or3_b32 v32, v33, v32, v6
	v_cvt_f32_bf8_sdwa v6, v31 src0_sel:BYTE_0
	v_mov_b32_e32 v34, 0
	v_cvt_pk_bf8_f32 v34, v35, v35
	v_mov_b32_e32 v35, 0
	v_mul_f32_e32 v6, v49, v6
	v_med3_f32 v31, v6, s69, v59
	v_cmp_nlg_f32_e64 vcc, |v6|, s68
	v_cvt_pk_bf8_f32 v35, v36, v36
	v_mov_b32_e32 v36, 0
	v_cndmask_b32_e32 v6, v31, v6, vcc
	v_med3_f32 v31, v30, s69, v59
	v_cmp_nlg_f32_e64 vcc, |v30|, s68
	v_cvt_pk_bf8_f32 v36, v38, v38
	v_mov_b32_e32 v38, 0
	v_cndmask_b32_e32 v30, v31, v30, vcc
	v_med3_f32 v31, v1, s69, v59
	v_cmp_nlg_f32_e64 vcc, |v1|, s68
	v_cvt_pk_bf8_f32 v38, v50, v50
	v_lshlrev_b32_e32 v35, 8, v35
	v_cndmask_b32_e32 v1, v31, v1, vcc
	v_med3_f32 v31, v0, s69, v59
	v_cmp_nlg_f32_e64 vcc, |v0|, s68
	v_perm_b32 v34, v35, v34, s70
	v_and_b32_e32 v35, 0xff, v36
	v_cndmask_b32_e32 v0, v31, v0, vcc
	v_mov_b32_e32 v31, 0
	v_cvt_pk_bf8_f32 v31, v6, v6
	v_mov_b32_e32 v6, 0
	v_cvt_pk_bf8_f32 v6, v30, v30
	v_mov_b32_e32 v30, 0
	v_cvt_pk_bf8_f32 v30, v1, v1
	v_mov_b32_e32 v1, 0
	v_cvt_pk_bf8_f32 v1, v0, v0
	v_lshlrev_b32_e32 v0, 8, v6
	v_and_b32_e32 v6, 0xff, v30
	v_lshlrev_b32_e32 v36, 24, v38
	v_lshlrev_b32_e32 v35, 16, v35
	v_perm_b32 v0, v0, v31, s70
	v_lshlrev_b32_e32 v1, 24, v1
	v_lshlrev_b32_e32 v6, 16, v6
	v_or3_b32 v33, v36, v35, v34
	v_or3_b32 v34, v1, v6, v0
	v_cvt_f32_bf8_sdwa v0, v3 src0_sel:BYTE_0
	v_cvt_f32_bf8_sdwa v1, v8 src0_sel:BYTE_0
	;; [unrolled: 1-line block ×3, first 2 shown]
	v_and_b32_e32 v60, 0xff, v26
	v_mul_f32_e32 v0, v49, v0
	v_mul_f32_e32 v1, v49, v1
	v_med3_f32 v6, v0, s69, v59
	v_cmp_nlg_f32_e64 vcc, |v0|, s68
	v_mul_f32_e32 v3, v49, v3
	v_bfe_u32 v30, v27, 16, 8
	v_cndmask_b32_e32 v0, v6, v0, vcc
	v_med3_f32 v6, v1, s69, v59
	v_cmp_nlg_f32_e64 vcc, |v1|, s68
	v_lshrrev_b32_e32 v36, 24, v28
	v_bfe_u32 v38, v28, 16, 8
	v_cndmask_b32_e32 v1, v6, v1, vcc
	v_med3_f32 v6, v3, s69, v59
	v_cmp_nlg_f32_e64 vcc, |v3|, s68
	v_bfe_u32 v50, v29, 16, 8
	v_mov_b32_e32 v31, 0
	v_cndmask_b32_e32 v3, v6, v3, vcc
	v_med3_f32 v6, v2, s69, v59
	v_cmp_nlg_f32_e64 vcc, |v2|, s68
	s_waitcnt vmcnt(4)
	v_bfe_u32 v51, v23, 16, 8
	v_cndmask_b32_e32 v2, v6, v2, vcc
	v_mov_b32_e32 v6, 0
	v_cvt_pk_bf8_f32 v6, v0, v0
	v_mov_b32_e32 v0, 0
	v_cvt_pk_bf8_f32 v0, v1, v1
	;; [unrolled: 2-line block ×4, first 2 shown]
	v_lshlrev_b32_e32 v0, 8, v0
	v_and_b32_e32 v1, 0xff, v1
	v_perm_b32 v0, v0, v6, s70
	v_lshlrev_b32_e32 v2, 24, v3
	v_lshlrev_b32_e32 v1, 16, v1
	v_or3_b32 v35, v2, v1, v0
	v_bfe_u32 v0, v29, 8, 8
	v_accvgpr_write_b32 a5, v0
	v_lshrrev_b32_e32 v0, 24, v29
	v_accvgpr_write_b32 a36, v0
	v_cvt_f32_bf8_sdwa v0, v61 src0_sel:BYTE_0
	v_lshrrev_b32_e32 v6, 24, v27
	v_bfe_u32 v3, v28, 8, 8
	global_store_dwordx4 v[46:47], v[32:35], off offset:1024 nt
	v_mul_f32_e32 v0, v49, v0
	v_med3_f32 v1, v0, s69, v59
	v_cmp_nlg_f32_e64 vcc, |v0|, s68
	v_mov_b64_e32 v[32:33], v[46:47]
	v_and_b32_e32 v46, 0xff, v29
	v_cndmask_b32_e32 v0, v1, v0, vcc
	v_cvt_f32_bf8_sdwa v1, v7 src0_sel:BYTE_0
	v_mov_b32_e32 v29, 0
	v_lshrrev_b32_e32 v47, 24, v23
	v_cvt_f32_bf8_sdwa v6, v6 src0_sel:BYTE_0
	v_mul_f32_e32 v1, v49, v1
	v_med3_f32 v2, v1, s69, v59
	v_cmp_nlg_f32_e64 vcc, |v1|, s68
	v_mul_f32_e32 v6, v49, v6
	s_waitcnt vmcnt(3)
	v_bfe_u32 v61, v17, 8, 8
	v_cndmask_b32_e32 v1, v2, v1, vcc
	v_cvt_f32_bf8_sdwa v2, v45 src0_sel:BYTE_0
	v_bfe_u32 v45, v18, 8, 8
	v_mul_f32_e32 v2, v49, v2
	v_med3_f32 v7, v2, s69, v59
	v_cmp_nlg_f32_e64 vcc, |v2|, s68
	s_nop 1
	v_cndmask_b32_e32 v2, v7, v2, vcc
	v_cvt_f32_bf8_sdwa v7, v44 src0_sel:BYTE_0
	v_and_b32_e32 v44, 0xff, v19
	v_mul_f32_e32 v7, v49, v7
	v_med3_f32 v8, v7, s69, v59
	v_cmp_nlg_f32_e64 vcc, |v7|, s68
	s_nop 1
	v_cndmask_b32_e32 v7, v8, v7, vcc
	v_med3_f32 v8, v5, s69, v59
	v_cmp_nlg_f32_e64 vcc, |v5|, s68
	s_nop 1
	v_cndmask_b32_e32 v5, v8, v5, vcc
	v_cvt_f32_bf8_sdwa v8, v62 src0_sel:BYTE_0
	v_bfe_u32 v62, v18, 16, 8
	v_mul_f32_e32 v8, v49, v8
	v_med3_f32 v26, v8, s69, v59
	v_cmp_nlg_f32_e64 vcc, |v8|, s68
	s_nop 1
	v_cndmask_b32_e32 v8, v26, v8, vcc
	v_med3_f32 v26, v4, s69, v59
	v_cmp_nlg_f32_e64 vcc, |v4|, s68
	s_nop 1
	v_cndmask_b32_e32 v4, v26, v4, vcc
	v_cvt_f32_bf8_sdwa v26, v58 src0_sel:BYTE_0
	v_and_b32_e32 v58, 0xff, v18
	v_mul_f32_e32 v26, v49, v26
	v_med3_f32 v27, v26, s69, v59
	v_cmp_nlg_f32_e64 vcc, |v26|, s68
	s_nop 1
	v_cndmask_b32_e32 v26, v27, v26, vcc
	v_mov_b32_e32 v27, 0
	v_cvt_pk_bf8_f32 v27, v0, v0
	v_mov_b32_e32 v0, 0
	v_cvt_pk_bf8_f32 v0, v1, v1
	;; [unrolled: 2-line block ×8, first 2 shown]
	v_lshlrev_b32_e32 v0, 8, v0
	v_and_b32_e32 v1, 0xff, v1
	v_perm_b32 v0, v0, v27, s70
	v_lshlrev_b32_e32 v2, 24, v2
	v_lshlrev_b32_e32 v1, 16, v1
	;; [unrolled: 1-line block ×3, first 2 shown]
	v_or3_b32 v26, v2, v1, v0
	v_cvt_f32_bf8_sdwa v0, v48 src0_sel:BYTE_0
	v_perm_b32 v5, v5, v7, s70
	v_and_b32_e32 v7, 0xff, v8
	v_cvt_f32_bf8_sdwa v1, v37 src0_sel:BYTE_0
	v_lshlrev_b32_e32 v4, 24, v4
	v_lshlrev_b32_e32 v7, 16, v7
	v_cvt_f32_bf8_sdwa v2, v9 src0_sel:BYTE_0
	v_or3_b32 v27, v4, v7, v5
	v_cvt_f32_bf8_sdwa v4, v40 src0_sel:BYTE_0
	v_mul_f32_e32 v0, v49, v0
	v_mul_f32_e32 v1, v49, v1
	v_med3_f32 v5, v0, s69, v59
	v_cmp_nlg_f32_e64 vcc, |v0|, s68
	v_mul_f32_e32 v2, v49, v2
	v_mul_f32_e32 v4, v49, v4
	v_cndmask_b32_e32 v0, v5, v0, vcc
	v_med3_f32 v5, v1, s69, v59
	v_cmp_nlg_f32_e64 vcc, |v1|, s68
	v_mov_b32_e32 v8, 0
	v_lshrrev_b32_e32 v40, 24, v18
	v_cndmask_b32_e32 v1, v5, v1, vcc
	v_med3_f32 v5, v2, s69, v59
	v_cmp_nlg_f32_e64 vcc, |v2|, s68
	v_lshrrev_b32_e32 v37, 24, v19
	v_and_b32_e32 v48, 0xff, v24
	v_cndmask_b32_e32 v2, v5, v2, vcc
	v_med3_f32 v5, v4, s69, v59
	v_cmp_nlg_f32_e64 vcc, |v4|, s68
	v_cvt_f32_bf8_sdwa v9, v50 src0_sel:BYTE_0
	v_cvt_f32_bf8_sdwa v37, v37 src0_sel:BYTE_0
	v_cndmask_b32_e32 v4, v5, v4, vcc
	v_mov_b32_e32 v5, 0
	v_cvt_pk_bf8_f32 v5, v0, v0
	v_mov_b32_e32 v0, 0
	v_cvt_pk_bf8_f32 v0, v1, v1
	;; [unrolled: 2-line block ×4, first 2 shown]
	v_lshlrev_b32_e32 v0, 8, v0
	v_and_b32_e32 v1, 0xff, v1
	v_perm_b32 v0, v0, v5, s70
	v_lshlrev_b32_e32 v2, 24, v2
	v_lshlrev_b32_e32 v1, 16, v1
	v_or3_b32 v28, v2, v1, v0
	v_cvt_f32_bf8_sdwa v0, v39 src0_sel:BYTE_0
	v_cvt_f32_bf8_sdwa v1, v53 src0_sel:BYTE_0
	;; [unrolled: 1-line block ×4, first 2 shown]
	v_mul_f32_e32 v0, v49, v0
	v_mul_f32_e32 v1, v49, v1
	v_med3_f32 v7, v0, s69, v59
	v_cmp_nlg_f32_e64 vcc, |v0|, s68
	v_mul_f32_e32 v2, v49, v2
	v_mul_f32_e32 v4, v49, v4
	v_cndmask_b32_e32 v7, v7, v0, vcc
	v_med3_f32 v0, v1, s69, v59
	v_cmp_nlg_f32_e64 vcc, |v1|, s68
	v_mov_b32_e32 v5, 0
	v_cvt_pk_bf8_f32 v8, v7, v7
	v_cndmask_b32_e32 v34, v0, v1, vcc
	v_med3_f32 v0, v2, s69, v59
	v_cmp_nlg_f32_e64 vcc, |v2|, s68
	v_cvt_pk_bf8_f32 v5, v34, v34
	v_bfe_u32 v1, v22, 8, 8
	v_cndmask_b32_e32 v2, v0, v2, vcc
	v_med3_f32 v0, v4, s69, v59
	v_cmp_nlg_f32_e64 vcc, |v4|, s68
	v_cvt_pk_bf8_f32 v29, v2, v2
	v_bfe_u32 v2, v22, 16, 8
	v_cndmask_b32_e32 v35, v0, v4, vcc
	v_cvt_pk_bf8_f32 v31, v35, v35
	v_and_b32_e32 v0, 0xff, v22
	v_lshrrev_b32_e32 v4, 24, v22
	v_lshlrev_b32_e32 v5, 8, v5
	v_and_b32_e32 v22, 0xff, v29
	v_perm_b32 v5, v5, v8, s70
	v_lshlrev_b32_e32 v29, 24, v31
	v_lshlrev_b32_e32 v22, 16, v22
	v_or3_b32 v29, v29, v22, v5
	v_and_b32_e32 v5, 0xff, v25
	v_accvgpr_write_b32 a53, v5
	v_bfe_u32 v5, v25, 8, 8
	v_accvgpr_write_b32 a43, v5
	v_lshrrev_b32_e32 v5, 24, v25
	v_accvgpr_write_b32 a10, v5
	v_bfe_u32 v5, v25, 16, 8
	v_accvgpr_write_b32 a11, v5
	v_lshrrev_b32_e32 v5, 24, v21
	v_accvgpr_write_b32 a63, v5
	v_cvt_f32_bf8_sdwa v5, v60 src0_sel:BYTE_0
	v_bfe_u32 v53, v19, 8, 8
	v_bfe_u32 v39, v19, 16, 8
	global_store_dwordx4 v[32:33], v[26:29], off offset:2048 nt
	v_mul_f32_e32 v5, v49, v5
	v_med3_f32 v18, v5, s69, v59
	v_cmp_nlg_f32_e64 vcc, |v5|, s68
	v_and_b32_e32 v35, 0xff, v20
	v_bfe_u32 v34, v20, 8, 8
	v_cndmask_b32_e32 v5, v18, v5, vcc
	v_cvt_f32_bf8_sdwa v18, v55 src0_sel:BYTE_0
	v_lshrrev_b32_e32 v27, 24, v20
	v_bfe_u32 v29, v20, 16, 8
	v_and_b32_e32 v7, 0xff, v23
	v_mul_f32_e32 v18, v49, v18
	v_med3_f32 v19, v18, s69, v59
	v_cmp_nlg_f32_e64 vcc, |v18|, s68
	v_bfe_u32 v8, v23, 8, 8
	v_bfe_u32 v22, v24, 8, 8
	v_cndmask_b32_e32 v18, v19, v18, vcc
	v_cvt_f32_bf8_sdwa v19, v57 src0_sel:BYTE_0
	v_lshrrev_b32_e32 v54, 24, v24
	v_bfe_u32 v31, v24, 16, 8
	v_and_b32_e32 v25, 0xff, v21
	v_mul_f32_e32 v19, v49, v19
	v_med3_f32 v20, v19, s69, v59
	v_cmp_nlg_f32_e64 vcc, |v19|, s68
	v_bfe_u32 v24, v21, 8, 8
	v_bfe_u32 v23, v21, 16, 8
	v_cndmask_b32_e32 v19, v20, v19, vcc
	v_cvt_f32_bf8_sdwa v20, v56 src0_sel:BYTE_0
	s_waitcnt vmcnt(3)
	v_bfe_u32 v52, v10, 8, 8
	v_cvt_f32_bf8_sdwa v0, v0 src0_sel:BYTE_0
	v_cvt_f32_bf8_sdwa v1, v1 src0_sel:BYTE_0
	v_mul_f32_e32 v20, v49, v20
	v_med3_f32 v21, v20, s69, v59
	v_cmp_nlg_f32_e64 vcc, |v20|, s68
	v_mul_f32_e32 v9, v49, v9
	v_cvt_f32_bf8_sdwa v2, v2 src0_sel:BYTE_0
	v_cndmask_b32_e32 v20, v21, v20, vcc
	v_cvt_f32_bf8_sdwa v21, v43 src0_sel:BYTE_0
	v_cvt_f32_bf8_sdwa v4, v4 src0_sel:BYTE_0
	v_mul_f32_e32 v0, v49, v0
	v_cvt_f32_bf8_sdwa v7, v7 src0_sel:BYTE_0
	v_mul_f32_e32 v21, v49, v21
	v_med3_f32 v26, v21, s69, v59
	v_cmp_nlg_f32_e64 vcc, |v21|, s68
	v_mul_f32_e32 v1, v49, v1
	v_cvt_f32_bf8_sdwa v8, v8 src0_sel:BYTE_0
	v_cndmask_b32_e32 v21, v26, v21, vcc
	v_cvt_f32_bf8_sdwa v26, v42 src0_sel:BYTE_0
	v_mul_f32_e32 v2, v49, v2
	v_mul_f32_e32 v4, v49, v4
	;; [unrolled: 1-line block ×4, first 2 shown]
	v_med3_f32 v28, v26, s69, v59
	v_cmp_nlg_f32_e64 vcc, |v26|, s68
	v_mul_f32_e32 v8, v49, v8
	v_and_b32_e32 v43, 0xff, v16
	v_cndmask_b32_e32 v26, v28, v26, vcc
	v_cvt_f32_bf8_sdwa v28, v30 src0_sel:BYTE_0
	v_bfe_u32 v42, v16, 8, 8
	v_bfe_u32 v56, v16, 16, 8
	v_lshrrev_b32_e32 v57, 24, v17
	v_mul_f32_e32 v28, v49, v28
	v_med3_f32 v30, v28, s69, v59
	v_cmp_nlg_f32_e64 vcc, |v28|, s68
	v_bfe_u32 v60, v17, 16, 8
	v_lshrrev_b32_e32 v55, 24, v15
	v_cndmask_b32_e32 v28, v30, v28, vcc
	v_med3_f32 v30, v6, s69, v59
	v_cmp_nlg_f32_e64 vcc, |v6|, s68
	v_cvt_f32_bf8_sdwa v53, v53 src0_sel:BYTE_0
	v_cvt_f32_bf8_sdwa v39, v39 src0_sel:BYTE_0
	v_cndmask_b32_e32 v6, v30, v6, vcc
	v_mov_b32_e32 v30, 0
	v_cvt_pk_bf8_f32 v30, v5, v5
	v_mov_b32_e32 v5, 0
	v_cvt_pk_bf8_f32 v5, v18, v18
	v_mov_b32_e32 v18, 0
	v_cvt_pk_bf8_f32 v18, v19, v19
	v_mov_b32_e32 v19, 0
	v_cvt_pk_bf8_f32 v19, v20, v20
	v_mov_b32_e32 v20, 0
	v_cvt_pk_bf8_f32 v20, v21, v21
	v_mov_b32_e32 v21, 0
	v_cvt_pk_bf8_f32 v21, v26, v26
	v_mov_b32_e32 v26, 0
	v_lshlrev_b32_e32 v5, 8, v5
	v_and_b32_e32 v18, 0xff, v18
	v_cvt_pk_bf8_f32 v26, v28, v28
	v_mov_b32_e32 v28, 0
	v_perm_b32 v5, v5, v30, s70
	v_lshlrev_b32_e32 v19, 24, v19
	v_lshlrev_b32_e32 v18, 16, v18
	v_cvt_pk_bf8_f32 v28, v6, v6
	v_or3_b32 v18, v19, v18, v5
	v_cvt_f32_bf8_sdwa v5, v41 src0_sel:BYTE_0
	v_lshlrev_b32_e32 v6, 8, v21
	v_perm_b32 v6, v6, v20, s70
	v_and_b32_e32 v20, 0xff, v26
	v_lshlrev_b32_e32 v21, 24, v28
	v_lshlrev_b32_e32 v20, 16, v20
	v_mul_f32_e32 v5, v49, v5
	v_or3_b32 v19, v21, v20, v6
	v_med3_f32 v6, v5, s69, v59
	v_cmp_nlg_f32_e64 vcc, |v5|, s68
	v_and_b32_e32 v41, 0xff, v10
	v_bfe_u32 v28, v11, 16, 8
	v_cndmask_b32_e32 v5, v6, v5, vcc
	v_cvt_f32_bf8_sdwa v6, v3 src0_sel:BYTE_0
	v_accvgpr_read_b32 v3, a5
	v_and_b32_e32 v30, 0xff, v17
	v_bfe_u32 v17, v12, 8, 8
	v_mul_f32_e32 v6, v49, v6
	v_med3_f32 v20, v6, s69, v59
	v_cmp_nlg_f32_e64 vcc, |v6|, s68
	v_cvt_f32_bf8_sdwa v35, v35 src0_sel:BYTE_0
	v_mul_f32_e32 v53, v49, v53
	v_cndmask_b32_e32 v6, v20, v6, vcc
	v_cvt_f32_bf8_sdwa v20, v38 src0_sel:BYTE_0
	v_bfe_u32 v38, v10, 16, 8
	v_cvt_f32_bf8_sdwa v34, v34 src0_sel:BYTE_0
	v_mul_f32_e32 v39, v49, v39
	v_mul_f32_e32 v20, v49, v20
	v_med3_f32 v21, v20, s69, v59
	v_cmp_nlg_f32_e64 vcc, |v20|, s68
	v_cvt_f32_bf8_sdwa v29, v29 src0_sel:BYTE_0
	v_mul_f32_e32 v37, v49, v37
	v_cndmask_b32_e32 v20, v21, v20, vcc
	v_cvt_f32_bf8_sdwa v21, v36 src0_sel:BYTE_0
	v_lshrrev_b32_e32 v36, 24, v10
	v_and_b32_e32 v10, 0xff, v12
	v_accvgpr_write_b32 a5, v10
	v_mul_f32_e32 v21, v49, v21
	v_med3_f32 v26, v21, s69, v59
	v_cmp_nlg_f32_e64 vcc, |v21|, s68
	v_lshrrev_b32_e32 v10, 24, v12
	v_accvgpr_write_b32 a62, v10
	v_cndmask_b32_e32 v21, v26, v21, vcc
	v_mov_b32_e32 v26, 0
	v_cvt_pk_bf8_f32 v26, v5, v5
	v_mov_b32_e32 v5, 0
	v_cvt_pk_bf8_f32 v5, v6, v6
	;; [unrolled: 2-line block ×4, first 2 shown]
	v_lshlrev_b32_e32 v5, 8, v5
	v_and_b32_e32 v6, 0xff, v6
	v_perm_b32 v5, v5, v26, s70
	v_lshlrev_b32_e32 v20, 24, v20
	v_lshlrev_b32_e32 v6, 16, v6
	v_or3_b32 v20, v20, v6, v5
	v_cvt_f32_bf8_sdwa v5, v46 src0_sel:BYTE_0
	v_bfe_u32 v10, v12, 16, 8
	v_lshrrev_b32_e32 v26, 24, v11
	v_and_b32_e32 v46, 0xff, v15
	v_mul_f32_e32 v5, v49, v5
	v_med3_f32 v6, v5, s69, v59
	v_cmp_nlg_f32_e64 vcc, |v5|, s68
	v_cvt_f32_bf8_sdwa v27, v27 src0_sel:BYTE_0
	v_mul_f32_e32 v35, v49, v35
	v_cndmask_b32_e32 v5, v6, v5, vcc
	v_cvt_f32_bf8_sdwa v6, v3 src0_sel:BYTE_0
	v_accvgpr_read_b32 v3, a36
	v_cvt_f32_bf8_sdwa v3, v3 src0_sel:BYTE_0
	v_accvgpr_write_b32 a36, v10
	v_mul_f32_e32 v6, v49, v6
	v_med3_f32 v21, v6, s69, v59
	v_cmp_nlg_f32_e64 vcc, |v6|, s68
	v_and_b32_e32 v10, 0xff, v13
	v_mul_f32_e32 v3, v49, v3
	v_cndmask_b32_e32 v6, v21, v6, vcc
	v_med3_f32 v21, v9, s69, v59
	v_cmp_nlg_f32_e64 vcc, |v9|, s68
	v_accvgpr_write_b32 a61, v10
	v_bfe_u32 v10, v13, 8, 8
	v_cndmask_b32_e32 v9, v21, v9, vcc
	v_med3_f32 v21, v3, s69, v59
	v_cmp_nlg_f32_e64 vcc, |v3|, s68
	v_accvgpr_write_b32 a60, v10
	v_lshrrev_b32_e32 v10, 24, v13
	v_cndmask_b32_e32 v3, v21, v3, vcc
	v_accvgpr_write_b32 a59, v10
	v_med3_f32 v10, v0, s69, v59
	v_cmp_nlg_f32_e64 vcc, |v0|, s68
	v_mov_b32_e32 v21, 0
	v_cvt_pk_bf8_f32 v21, v5, v5
	v_cndmask_b32_e32 v0, v10, v0, vcc
	v_med3_f32 v10, v1, s69, v59
	v_cmp_nlg_f32_e64 vcc, |v1|, s68
	v_mov_b32_e32 v5, 0
	v_cvt_pk_bf8_f32 v5, v6, v6
	v_cndmask_b32_e32 v1, v10, v1, vcc
	;; [unrolled: 5-line block ×4, first 2 shown]
	v_med3_f32 v10, v7, s69, v59
	v_cmp_nlg_f32_e64 vcc, |v7|, s68
	v_lshlrev_b32_e32 v3, 8, v5
	v_and_b32_e32 v5, 0xff, v6
	v_cndmask_b32_e32 v7, v10, v7, vcc
	v_med3_f32 v10, v8, s69, v59
	v_cmp_nlg_f32_e64 vcc, |v8|, s68
	v_perm_b32 v3, v3, v21, s70
	v_lshlrev_b32_e32 v6, 24, v9
	v_cndmask_b32_e32 v8, v10, v8, vcc
	v_cvt_f32_bf8_sdwa v10, v51 src0_sel:BYTE_0
	v_lshlrev_b32_e32 v5, 16, v5
	v_or3_b32 v21, v6, v5, v3
	global_store_dwordx4 v[32:33], v[18:21], off offset:3072 nt
	v_mul_f32_e32 v10, v49, v10
	v_cmp_nlg_f32_e64 vcc, |v10|, s68
	v_lshrrev_b32_e32 v20, 24, v16
	v_and_b32_e32 v21, 0xff, v11
	v_bfe_u32 v16, v11, 8, 8
	v_med3_f32 v11, v10, s69, v59
	v_cndmask_b32_e32 v10, v11, v10, vcc
	v_cvt_f32_bf8_sdwa v11, v47 src0_sel:BYTE_0
	v_and_b32_e32 v3, 0xff, v14
	v_bfe_u32 v5, v14, 8, 8
	v_lshrrev_b32_e32 v9, 24, v14
	v_mul_f32_e32 v11, v49, v11
	v_med3_f32 v12, v11, s69, v59
	v_cmp_nlg_f32_e64 vcc, |v11|, s68
	v_bfe_u32 v6, v14, 16, 8
	v_bfe_u32 v18, v15, 8, 8
	v_cndmask_b32_e32 v11, v12, v11, vcc
	v_mov_b32_e32 v12, 0
	v_cvt_pk_bf8_f32 v12, v0, v0
	v_mov_b32_e32 v0, 0
	v_cvt_pk_bf8_f32 v0, v1, v1
	;; [unrolled: 2-line block ×8, first 2 shown]
	v_lshlrev_b32_e32 v7, 8, v7
	v_lshlrev_b32_e32 v0, 8, v0
	v_perm_b32 v4, v7, v4, s70
	v_and_b32_e32 v1, 0xff, v1
	v_and_b32_e32 v7, 0xff, v8
	v_perm_b32 v0, v0, v12, s70
	v_lshlrev_b32_e32 v2, 24, v2
	v_lshlrev_b32_e32 v8, 24, v10
	;; [unrolled: 1-line block ×4, first 2 shown]
	v_or3_b32 v0, v2, v1, v0
	v_or3_b32 v1, v8, v7, v4
	v_mov_b64_e32 v[10:11], v[0:1]
	v_cvt_f32_bf8_sdwa v0, v48 src0_sel:BYTE_0
	v_bfe_u32 v19, v15, 16, 8
	v_cvt_f32_bf8_sdwa v25, v25 src0_sel:BYTE_0
	v_mul_f32_e32 v34, v49, v34
	v_mul_f32_e32 v0, v49, v0
	v_med3_f32 v1, v0, s69, v59
	v_cmp_nlg_f32_e64 vcc, |v0|, s68
	v_cvt_f32_bf8_sdwa v24, v24 src0_sel:BYTE_0
	v_mul_f32_e32 v29, v49, v29
	v_cndmask_b32_e32 v0, v1, v0, vcc
	v_cvt_f32_bf8_sdwa v1, v22 src0_sel:BYTE_0
	v_cvt_f32_bf8_sdwa v23, v23 src0_sel:BYTE_0
	v_mul_f32_e32 v27, v49, v27
	v_mul_f32_e32 v25, v49, v25
	;; [unrolled: 1-line block ×3, first 2 shown]
	v_med3_f32 v2, v1, s69, v59
	v_cmp_nlg_f32_e64 vcc, |v1|, s68
	v_cvt_f32_bf8_sdwa v3, v3 src0_sel:BYTE_0
	v_mul_f32_e32 v24, v49, v24
	v_cndmask_b32_e32 v1, v2, v1, vcc
	v_cvt_f32_bf8_sdwa v2, v31 src0_sel:BYTE_0
	v_cvt_f32_bf8_sdwa v5, v5 src0_sel:BYTE_0
	v_mul_f32_e32 v23, v49, v23
	v_cvt_f32_bf8_sdwa v6, v6 src0_sel:BYTE_0
	v_mul_f32_e32 v2, v49, v2
	v_med3_f32 v4, v2, s69, v59
	v_cmp_nlg_f32_e64 vcc, |v2|, s68
	v_cvt_f32_bf8_sdwa v9, v9 src0_sel:BYTE_0
	v_mul_f32_e32 v3, v49, v3
	v_cndmask_b32_e32 v2, v4, v2, vcc
	v_cvt_f32_bf8_sdwa v4, v54 src0_sel:BYTE_0
	v_mul_f32_e32 v5, v49, v5
	v_mul_f32_e32 v6, v49, v6
	;; [unrolled: 1-line block ×4, first 2 shown]
	v_med3_f32 v7, v4, s69, v59
	v_cmp_nlg_f32_e64 vcc, |v4|, s68
	v_cvt_f32_bf8_sdwa v18, v18 src0_sel:BYTE_0
	v_cvt_f32_bf8_sdwa v19, v19 src0_sel:BYTE_0
	v_cndmask_b32_e32 v4, v7, v4, vcc
	v_mov_b32_e32 v7, 0
	v_cvt_pk_bf8_f32 v7, v0, v0
	v_mov_b32_e32 v0, 0
	v_cvt_pk_bf8_f32 v0, v1, v1
	;; [unrolled: 2-line block ×4, first 2 shown]
	v_lshlrev_b32_e32 v0, 8, v0
	v_and_b32_e32 v1, 0xff, v1
	v_perm_b32 v0, v0, v7, s70
	v_lshlrev_b32_e32 v2, 24, v2
	v_lshlrev_b32_e32 v1, 16, v1
	v_or3_b32 v12, v2, v1, v0
	v_accvgpr_read_b32 v0, a53
	v_cvt_f32_bf8_sdwa v0, v0 src0_sel:BYTE_0
	v_add_co_u32_e32 v14, vcc, s71, v32
	v_accvgpr_write_b32 a58, v12
	s_nop 0
	v_addc_co_u32_e32 v15, vcc, 0, v33, vcc
	v_mul_f32_e32 v0, v49, v0
	v_med3_f32 v1, v0, s69, v59
	v_cmp_nlg_f32_e64 vcc, |v0|, s68
	v_accvgpr_write_b32 a57, v11
	v_accvgpr_write_b32 a56, v10
	v_cndmask_b32_e32 v11, v1, v0, vcc
	v_accvgpr_read_b32 v0, a43
	v_cvt_f32_bf8_sdwa v1, v0 src0_sel:BYTE_0
	v_accvgpr_read_b32 v10, a63
	v_cvt_f32_bf8_sdwa v50, v10 src0_sel:BYTE_0
	v_cvt_f32_bf8_sdwa v55, v55 src0_sel:BYTE_0
	v_mul_f32_e32 v1, v49, v1
	v_med3_f32 v2, v1, s69, v59
	v_cmp_nlg_f32_e64 vcc, |v1|, s68
	v_mul_f32_e32 v50, v49, v50
	v_mul_f32_e32 v18, v49, v18
	v_cndmask_b32_e32 v0, v2, v1, vcc
	v_accvgpr_read_b32 v1, a11
	v_cvt_f32_bf8_sdwa v2, v1 src0_sel:BYTE_0
	v_mul_f32_e32 v19, v49, v19
	v_mul_f32_e32 v55, v49, v55
	v_cvt_f32_bf8_sdwa v42, v42 src0_sel:BYTE_0
	v_mul_f32_e32 v2, v49, v2
	v_med3_f32 v4, v2, s69, v59
	v_cmp_nlg_f32_e64 vcc, |v2|, s68
	v_mul_f32_e32 v42, v49, v42
	v_cvt_f32_bf8_sdwa v20, v20 src0_sel:BYTE_0
	v_cndmask_b32_e32 v1, v4, v2, vcc
	v_accvgpr_read_b32 v2, a10
	v_cvt_f32_bf8_sdwa v4, v2 src0_sel:BYTE_0
	v_cvt_f32_bf8_sdwa v30, v30 src0_sel:BYTE_0
	v_mul_f32_e32 v20, v49, v20
	v_cvt_f32_bf8_sdwa v41, v41 src0_sel:BYTE_0
	v_mul_f32_e32 v4, v49, v4
	v_med3_f32 v7, v4, s69, v59
	v_cmp_nlg_f32_e64 vcc, |v4|, s68
	v_mul_f32_e32 v30, v49, v30
	v_cvt_f32_bf8_sdwa v52, v52 src0_sel:BYTE_0
	v_cndmask_b32_e32 v12, v7, v4, vcc
	v_cvt_f32_bf8_sdwa v7, v58 src0_sel:BYTE_0
	v_cvt_f32_bf8_sdwa v38, v38 src0_sel:BYTE_0
	;; [unrolled: 1-line block ×3, first 2 shown]
	v_mul_f32_e32 v41, v49, v41
	v_mul_f32_e32 v7, v49, v7
	v_med3_f32 v8, v7, s69, v59
	v_cmp_nlg_f32_e64 vcc, |v7|, s68
	v_cvt_f32_bf8_sdwa v33, v21 src0_sel:BYTE_0
	v_mul_f32_e32 v52, v49, v52
	v_cndmask_b32_e32 v2, v8, v7, vcc
	v_cvt_f32_bf8_sdwa v8, v45 src0_sel:BYTE_0
	v_cvt_f32_bf8_sdwa v32, v16 src0_sel:BYTE_0
	v_mul_f32_e32 v38, v49, v38
	v_cvt_f32_bf8_sdwa v28, v28 src0_sel:BYTE_0
	v_mul_f32_e32 v8, v49, v8
	v_med3_f32 v22, v8, s69, v59
	v_cmp_nlg_f32_e64 vcc, |v8|, s68
	v_mul_f32_e32 v36, v49, v36
	v_cvt_f32_bf8_sdwa v26, v26 src0_sel:BYTE_0
	v_cndmask_b32_e32 v8, v22, v8, vcc
	v_cvt_f32_bf8_sdwa v22, v62 src0_sel:BYTE_0
	v_accvgpr_read_b32 v10, a5
	v_mul_f32_e32 v33, v49, v33
	v_cvt_f32_bf8_sdwa v21, v10 src0_sel:BYTE_0
	v_mul_f32_e32 v22, v49, v22
	v_med3_f32 v31, v22, s69, v59
	v_cmp_nlg_f32_e64 vcc, |v22|, s68
	v_mul_f32_e32 v32, v49, v32
	v_cvt_f32_bf8_sdwa v16, v17 src0_sel:BYTE_0
	v_cndmask_b32_e32 v4, v31, v22, vcc
	v_cvt_f32_bf8_sdwa v31, v40 src0_sel:BYTE_0
	v_mul_f32_e32 v28, v49, v28
	v_mul_f32_e32 v26, v49, v26
	;; [unrolled: 1-line block ×4, first 2 shown]
	v_med3_f32 v51, v31, s69, v59
	v_cmp_nlg_f32_e64 vcc, |v31|, s68
	v_mul_f32_e32 v16, v49, v16
	v_accvgpr_read_b32 v10, a36
	v_cndmask_b32_e32 v7, v51, v31, vcc
	v_cvt_f32_bf8_sdwa v51, v44 src0_sel:BYTE_0
	v_bfe_u32 v13, v13, 16, 8
	v_cvt_f32_bf8_sdwa v13, v13 src0_sel:BYTE_0
	v_mov_b32_e32 v48, 0
	v_mul_f32_e32 v51, v49, v51
	v_med3_f32 v54, v51, s69, v59
	v_cmp_nlg_f32_e64 vcc, |v51|, s68
	v_mul_f32_e32 v13, v49, v13
	v_cvt_pk_bf8_f32 v48, v11, v11
	v_cndmask_b32_e32 v51, v54, v51, vcc
	v_med3_f32 v54, v53, s69, v59
	v_cmp_nlg_f32_e64 vcc, |v53|, s68
	v_mov_b32_e32 v11, 0
	v_cvt_pk_bf8_f32 v11, v0, v0
	v_cndmask_b32_e32 v53, v54, v53, vcc
	v_med3_f32 v54, v39, s69, v59
	v_cmp_nlg_f32_e64 vcc, |v39|, s68
	v_mov_b32_e32 v0, 0
	v_cvt_pk_bf8_f32 v0, v1, v1
	v_cndmask_b32_e32 v39, v54, v39, vcc
	v_med3_f32 v54, v37, s69, v59
	v_cmp_nlg_f32_e64 vcc, |v37|, s68
	v_mov_b32_e32 v1, 0
	v_cvt_pk_bf8_f32 v1, v12, v12
	v_cndmask_b32_e32 v37, v54, v37, vcc
	v_med3_f32 v54, v35, s69, v59
	v_cmp_nlg_f32_e64 vcc, |v35|, s68
	v_mov_b32_e32 v12, 0
	v_cvt_pk_bf8_f32 v12, v2, v2
	v_cndmask_b32_e32 v35, v54, v35, vcc
	v_med3_f32 v54, v34, s69, v59
	v_cmp_nlg_f32_e64 vcc, |v34|, s68
	v_mov_b32_e32 v2, 0
	v_cvt_pk_bf8_f32 v2, v4, v4
	v_cndmask_b32_e32 v34, v54, v34, vcc
	v_med3_f32 v54, v29, s69, v59
	v_cmp_nlg_f32_e64 vcc, |v29|, s68
	v_mov_b32_e32 v4, 0
	v_cvt_pk_bf8_f32 v4, v7, v7
	v_cndmask_b32_e32 v58, v54, v29, vcc
	v_med3_f32 v54, v27, s69, v59
	v_cmp_nlg_f32_e64 vcc, |v27|, s68
	v_mov_b32_e32 v7, 0
	v_cvt_pk_bf8_f32 v7, v39, v39
	v_cndmask_b32_e32 v27, v54, v27, vcc
	v_med3_f32 v54, v25, s69, v59
	v_cmp_nlg_f32_e64 vcc, |v25|, s68
	v_mov_b32_e32 v39, 0
	v_lshlrev_b32_e32 v11, 8, v11
	v_cndmask_b32_e32 v22, v54, v25, vcc
	v_med3_f32 v54, v24, s69, v59
	v_cmp_nlg_f32_e64 vcc, |v24|, s68
	v_and_b32_e32 v0, 0xff, v0
	v_lshlrev_b32_e32 v1, 24, v1
	v_cndmask_b32_e32 v24, v54, v24, vcc
	v_med3_f32 v54, v23, s69, v59
	v_cmp_nlg_f32_e64 vcc, |v23|, s68
	v_cvt_pk_bf8_f32 v39, v24, v24
	v_mov_b32_e32 v24, 0
	v_cndmask_b32_e32 v23, v54, v23, vcc
	v_med3_f32 v54, v50, s69, v59
	v_cmp_nlg_f32_e64 vcc, |v50|, s68
	v_and_b32_e32 v2, 0xff, v2
	v_and_b32_e32 v7, 0xff, v7
	v_cndmask_b32_e32 v50, v54, v50, vcc
	v_med3_f32 v54, v3, s69, v59
	v_cmp_nlg_f32_e64 vcc, |v3|, s68
	v_lshlrev_b32_e32 v0, 16, v0
	v_lshlrev_b32_e32 v4, 24, v4
	v_cndmask_b32_e32 v3, v54, v3, vcc
	v_med3_f32 v54, v5, s69, v59
	v_cmp_nlg_f32_e64 vcc, |v5|, s68
	v_lshlrev_b32_e32 v2, 16, v2
	v_lshlrev_b32_e32 v7, 16, v7
	v_cndmask_b32_e32 v5, v54, v5, vcc
	v_med3_f32 v54, v6, s69, v59
	v_cmp_nlg_f32_e64 vcc, |v6|, s68
	s_nop 1
	v_cndmask_b32_e32 v6, v54, v6, vcc
	v_med3_f32 v54, v9, s69, v59
	v_cmp_nlg_f32_e64 vcc, |v9|, s68
	s_nop 1
	v_cndmask_b32_e32 v9, v54, v9, vcc
	v_cvt_f32_bf8_sdwa v54, v46 src0_sel:BYTE_0
	s_nop 0
	v_mul_f32_e32 v54, v49, v54
	v_med3_f32 v40, v54, s69, v59
	v_cmp_nlg_f32_e64 vcc, |v54|, s68
	s_nop 1
	v_cndmask_b32_e32 v54, v40, v54, vcc
	v_med3_f32 v40, v18, s69, v59
	v_cmp_nlg_f32_e64 vcc, |v18|, s68
	s_nop 1
	v_cndmask_b32_e32 v18, v40, v18, vcc
	;; [unrolled: 4-line block ×4, first 2 shown]
	v_cvt_f32_bf8_sdwa v40, v43 src0_sel:BYTE_0
	s_nop 0
	v_mul_f32_e32 v40, v49, v40
	v_med3_f32 v43, v40, s69, v59
	v_cmp_nlg_f32_e64 vcc, |v40|, s68
	s_nop 1
	v_cndmask_b32_e32 v40, v43, v40, vcc
	v_med3_f32 v43, v42, s69, v59
	v_cmp_nlg_f32_e64 vcc, |v42|, s68
	s_nop 1
	v_cndmask_b32_e32 v42, v43, v42, vcc
	v_cvt_f32_bf8_sdwa v43, v56 src0_sel:BYTE_0
	v_mov_b32_e32 v56, 0
	v_cvt_pk_bf8_f32 v56, v8, v8
	v_mov_b32_e32 v8, 0
	v_mul_f32_e32 v43, v49, v43
	v_med3_f32 v44, v43, s69, v59
	v_cmp_nlg_f32_e64 vcc, |v43|, s68
	v_cvt_pk_bf8_f32 v8, v37, v37
	v_mov_b32_e32 v37, 0
	v_cndmask_b32_e32 v43, v44, v43, vcc
	v_med3_f32 v44, v20, s69, v59
	v_cmp_nlg_f32_e64 vcc, |v20|, s68
	v_cvt_pk_bf8_f32 v37, v35, v35
	v_mov_b32_e32 v35, 0
	v_cndmask_b32_e32 v20, v44, v20, vcc
	;; [unrolled: 5-line block ×3, first 2 shown]
	v_cvt_f32_bf8_sdwa v44, v61 src0_sel:BYTE_0
	v_cvt_pk_bf8_f32 v34, v22, v22
	v_mov_b32_e32 v22, 0
	v_lshlrev_b32_e32 v8, 24, v8
	v_mul_f32_e32 v44, v49, v44
	v_med3_f32 v45, v44, s69, v59
	v_cmp_nlg_f32_e64 vcc, |v44|, s68
	s_nop 1
	v_cndmask_b32_e32 v44, v45, v44, vcc
	v_cvt_f32_bf8_sdwa v45, v60 src0_sel:BYTE_0
	s_nop 0
	v_mul_f32_e32 v45, v49, v45
	v_med3_f32 v46, v45, s69, v59
	v_cmp_nlg_f32_e64 vcc, |v45|, s68
	s_nop 1
	v_cndmask_b32_e32 v45, v46, v45, vcc
	v_cvt_f32_bf8_sdwa v46, v57 src0_sel:BYTE_0
	v_mov_b32_e32 v57, 0
	v_cvt_pk_bf8_f32 v57, v51, v51
	v_mov_b32_e32 v51, 0
	v_mul_f32_e32 v46, v49, v46
	v_med3_f32 v47, v46, s69, v59
	v_cmp_nlg_f32_e64 vcc, |v46|, s68
	v_cvt_pk_bf8_f32 v51, v53, v53
	v_mov_b32_e32 v53, 0
	v_cndmask_b32_e32 v46, v47, v46, vcc
	v_med3_f32 v47, v41, s69, v59
	v_cmp_nlg_f32_e64 vcc, |v41|, s68
	v_cvt_pk_bf8_f32 v53, v5, v5
	v_mov_b32_e32 v5, 0
	v_cndmask_b32_e32 v41, v47, v41, vcc
	;; [unrolled: 5-line block ×7, first 2 shown]
	v_med3_f32 v47, v28, s69, v59
	v_cmp_nlg_f32_e64 vcc, |v28|, s68
	v_cvt_pk_bf8_f32 v42, v30, v30
	v_cvt_pk_bf8_f32 v22, v46, v46
	v_cndmask_b32_e32 v29, v47, v28, vcc
	v_med3_f32 v47, v26, s69, v59
	v_cmp_nlg_f32_e64 vcc, |v26|, s68
	v_mov_b32_e32 v46, 0
	v_cvt_pk_bf8_f32 v46, v32, v32
	v_cndmask_b32_e32 v25, v47, v26, vcc
	v_med3_f32 v47, v21, s69, v59
	v_cmp_nlg_f32_e64 vcc, |v21|, s68
	v_lshlrev_b32_e32 v5, 24, v5
	v_lshlrev_b32_e32 v9, 24, v9
	v_cndmask_b32_e32 v47, v47, v21, vcc
	v_med3_f32 v21, v16, s69, v59
	v_cmp_nlg_f32_e64 vcc, |v16|, s68
	s_nop 1
	v_cndmask_b32_e32 v28, v21, v16, vcc
	v_cvt_f32_bf8_sdwa v16, v10 src0_sel:BYTE_0
	v_accvgpr_read_b32 v10, a62
	v_mov_b32_e32 v21, 0
	v_cvt_pk_bf8_f32 v21, v50, v50
	v_mul_f32_e32 v16, v49, v16
	v_med3_f32 v17, v16, s69, v59
	v_cmp_nlg_f32_e64 vcc, |v16|, s68
	v_mov_b32_e32 v50, 0
	v_cvt_pk_bf8_f32 v50, v3, v3
	v_cndmask_b32_e32 v26, v17, v16, vcc
	v_cvt_f32_bf8_sdwa v16, v10 src0_sel:BYTE_0
	v_accvgpr_read_b32 v10, a61
	v_mov_b32_e32 v3, 0
	v_cvt_pk_bf8_f32 v3, v6, v6
	v_mul_f32_e32 v16, v49, v16
	v_med3_f32 v17, v16, s69, v59
	v_cmp_nlg_f32_e64 vcc, |v16|, s68
	v_mov_b32_e32 v6, 0
	v_cvt_pk_bf8_f32 v36, v26, v26
	v_cndmask_b32_e32 v31, v17, v16, vcc
	v_cvt_f32_bf8_sdwa v16, v10 src0_sel:BYTE_0
	v_perm_b32 v26, v11, v48, s70
	v_lshlrev_b32_e32 v11, 8, v56
	v_cvt_pk_bf8_f32 v6, v19, v19
	v_mul_f32_e32 v16, v49, v16
	v_med3_f32 v17, v16, s69, v59
	v_cmp_nlg_f32_e64 vcc, |v16|, s68
	v_mov_b32_e32 v19, 0
	v_cvt_pk_bf8_f32 v19, v20, v20
	v_cndmask_b32_e32 v10, v17, v16, vcc
	v_accvgpr_read_b32 v16, a60
	v_cvt_f32_bf8_sdwa v16, v16 src0_sel:BYTE_0
	v_mov_b32_e32 v20, 0
	v_cvt_pk_bf8_f32 v20, v45, v45
	v_mov_b32_e32 v45, 0
	v_mul_f32_e32 v16, v49, v16
	v_med3_f32 v17, v16, s69, v59
	v_cmp_nlg_f32_e64 vcc, |v16|, s68
	v_cvt_pk_bf8_f32 v45, v33, v33
	v_and_b32_e32 v3, 0xff, v3
	v_cndmask_b32_e32 v60, v17, v16, vcc
	v_med3_f32 v16, v13, s69, v59
	v_cmp_nlg_f32_e64 vcc, |v13|, s68
	v_mov_b32_e32 v17, 0
	v_cvt_pk_bf8_f32 v17, v23, v23
	v_cndmask_b32_e32 v61, v16, v13, vcc
	v_accvgpr_read_b32 v13, a59
	v_cvt_f32_bf8_sdwa v13, v13 src0_sel:BYTE_0
	v_mov_b32_e32 v23, 0
	v_cvt_pk_bf8_f32 v23, v38, v38
	v_mov_b32_e32 v38, 0
	v_mul_f32_e32 v13, v49, v13
	v_med3_f32 v16, v13, s69, v59
	v_cmp_nlg_f32_e64 vcc, |v13|, s68
	v_cvt_pk_bf8_f32 v38, v31, v31
	v_mov_b32_e32 v31, 0
	v_cndmask_b32_e32 v62, v16, v13, vcc
	v_mov_b32_e32 v16, 0
	v_mov_b32_e32 v13, 0
	v_cvt_pk_bf8_f32 v16, v27, v27
	v_mov_b32_e32 v27, 0
	v_cvt_pk_bf8_f32 v13, v58, v58
	;; [unrolled: 2-line block ×9, first 2 shown]
	v_perm_b32 v28, v11, v12, s70
	v_lshlrev_b32_e32 v11, 8, v51
	v_cvt_pk_bf8_f32 v43, v44, v44
	v_mov_b32_e32 v44, 0
	v_perm_b32 v30, v11, v57, s70
	v_lshlrev_b32_e32 v11, 8, v35
	v_cvt_pk_bf8_f32 v44, v41, v41
	v_mov_b32_e32 v41, 0
	v_perm_b32 v32, v11, v37, s70
	v_lshlrev_b32_e32 v11, 8, v39
	v_cvt_pk_bf8_f32 v41, v52, v52
	v_perm_b32 v33, v11, v34, s70
	v_lshlrev_b32_e32 v11, 8, v53
	v_perm_b32 v34, v11, v50, s70
	v_lshlrev_b32_e32 v11, 8, v54
	;; [unrolled: 2-line block ×6, first 2 shown]
	v_perm_b32 v51, v11, v45, s70
	scratch_load_dwordx2 v[44:45], off, s33 offset:188 ; 8-byte Folded Reload
	v_accvgpr_read_b32 v40, a40
	v_accvgpr_read_b32 v41, a41
	;; [unrolled: 1-line block ×4, first 2 shown]
	v_lshl_add_u64 v[56:57], v[56:57], 0, v[40:41]
	v_cvt_pk_bf8_f32 v31, v10, v10
	v_mov_b32_e32 v10, 0
	v_mov_b32_e32 v52, 0
	v_cvt_pk_bf8_f32 v10, v60, v60
	v_cvt_pk_bf8_f32 v52, v61, v61
	v_mov_b32_e32 v60, 0
	v_cvt_pk_bf8_f32 v60, v62, v62
	v_accvgpr_read_b32 v55, a33
	v_accvgpr_read_b32 v54, a32
	;; [unrolled: 1-line block ×3, first 2 shown]
	v_and_b32_e32 v12, 0xff, v13
	v_lshlrev_b32_e32 v13, 24, v16
	v_and_b32_e32 v16, 0xff, v17
	v_lshlrev_b32_e32 v17, 24, v21
	v_lshlrev_b32_e32 v21, 24, v22
	v_and_b32_e32 v22, 0xff, v23
	v_sub_u32_e32 v42, v42, v54
	v_lshlrev_b32_e32 v11, 8, v47
	v_lshlrev_b32_e32 v23, 24, v24
	;; [unrolled: 1-line block ×4, first 2 shown]
	v_cmp_gt_i32_e32 vcc, 1, v42
	v_lshlrev_b32_e32 v10, 8, v10
	v_and_b32_e32 v6, 0xff, v6
	v_and_b32_e32 v18, 0xff, v18
	;; [unrolled: 1-line block ×4, first 2 shown]
	v_lshlrev_b32_e32 v27, 24, v29
	v_and_b32_e32 v29, 0xff, v36
	v_lshlrev_b32_e32 v36, 24, v38
	v_and_b32_e32 v38, 0xff, v52
	v_perm_b32 v11, v11, v25, s70
	v_lshlrev_b32_e32 v25, 16, v3
	v_or3_b32 v3, v17, v16, v33
	v_or3_b32 v16, v23, v22, v50
	v_accvgpr_read_b32 v22, a38
	s_or_b64 s[18:19], vcc, s[18:19]
	v_lshlrev_b32_e32 v19, 24, v19
	v_lshlrev_b32_e32 v48, 24, v60
	v_perm_b32 v10, v10, v31, s70
	v_lshlrev_b32_e32 v12, 16, v12
	v_lshlrev_b32_e32 v6, 16, v6
	;; [unrolled: 1-line block ×7, first 2 shown]
	v_or3_b32 v47, v1, v0, v26
	v_accvgpr_read_b32 v23, a39
	v_or3_b32 v0, v4, v2, v28
	v_or3_b32 v1, v8, v7, v30
	;; [unrolled: 1-line block ×10, first 2 shown]
	s_waitcnt vmcnt(0)
	v_lshl_add_u64 v[44:45], v[44:45], 0, v[40:41]
	scratch_store_dwordx2 off, v[44:45], s33 offset:188 ; 8-byte Folded Spill
	scratch_load_dwordx2 v[40:41], off, s33 offset:188 ; 8-byte Folded Reload
	v_accvgpr_read_b32 v44, a56
	v_accvgpr_read_b32 v45, a57
	;; [unrolled: 1-line block ×3, first 2 shown]
	global_store_dwordx4 v[14:15], v[44:47], off nt
	global_store_dwordx4 v[14:15], v[0:3], off offset:1024 nt
	global_store_dwordx4 v[14:15], v[4:7], off offset:2048 nt
	;; [unrolled: 1-line block ×3, first 2 shown]
	s_andn2_b64 exec, exec, s[18:19]
	s_cbranch_execnz .LBB6_469
; %bb.470:                              ;   in Loop: Header=BB6_397 Depth=1
	s_or_b64 exec, exec, s[18:19]
	v_accvgpr_read_b32 v21, a7
	v_accvgpr_read_b32 v25, a9
	;; [unrolled: 1-line block ×13, first 2 shown]
	s_waitcnt vmcnt(4)
	v_accvgpr_read_b32 v40, a50
	v_accvgpr_read_b32 v57, a0
	;; [unrolled: 1-line block ×23, first 2 shown]
	v_mov_b32_e32 v35, 1
	v_accvgpr_read_b32 v12, a52
	v_accvgpr_read_b32 v9, a2
.LBB6_471:                              ;   in Loop: Header=BB6_397 Depth=1
	s_or_b64 exec, exec, s[16:17]
	v_and_b32_e32 v8, 0x3fffe000, v9
	v_cmp_ne_u32_e32 vcc, v8, v9
	s_mov_b64 s[18:19], 0
	v_mov_b32_e32 v62, 0
                                        ; implicit-def: $vgpr6
                                        ; implicit-def: $vgpr4
                                        ; implicit-def: $vgpr10
	s_and_saveexec_b64 s[60:61], vcc
	s_cbranch_execz .LBB6_479
; %bb.472:                              ;   in Loop: Header=BB6_397 Depth=1
	scratch_load_dword v2, off, s33 offset:200 ; 4-byte Folded Reload
	v_lshlrev_b32_e32 v1, 6, v42
	v_and_b32_e32 v0, 0x1fff, v9
	v_and_b32_e32 v5, 0x1c00, v9
	v_sub_u32_e32 v7, v0, v5
	v_cmp_lt_i32_e32 vcc, 15, v7
	s_waitcnt vmcnt(0)
	v_sub_u32_e32 v1, v2, v1
	v_ashrrev_i32_e32 v2, 31, v1
	v_lshrrev_b32_e32 v2, 26, v2
	v_add_u32_e32 v2, v1, v2
	v_ashrrev_i32_e32 v3, 6, v2
	v_and_b32_e32 v2, 0xffffffc0, v2
	v_sub_u32_e32 v2, v1, v2
	v_lshlrev_b32_e32 v1, 4, v2
	v_lshl_add_u32 v6, v3, 10, v1
	v_bfe_u32 v1, v9, 10, 3
	v_sub_u32_e32 v4, v0, v6
	v_addc_co_u32_e64 v0, s[16:17], 0, v1, vcc
	v_sub_u32_e32 v3, v0, v3
	v_cmp_lt_i32_e64 s[16:17], 15, v4
	s_and_saveexec_b64 s[62:63], s[16:17]
	s_cbranch_execz .LBB6_476
; %bb.473:                              ;   in Loop: Header=BB6_397 Depth=1
	s_trap 2
	ds_read_b32 v5, v0
	ds_read_b64 v[0:1], v0
	v_accvgpr_write_b32 a47, v41
	v_accvgpr_write_b32 a34, v50
	;; [unrolled: 1-line block ×3, first 2 shown]
	s_waitcnt lgkmcnt(1)
	v_and_b32_e32 v5, 0xff, v5
	v_cvt_f32_bf8_sdwa v5, v5 src0_sel:BYTE_0
	v_accvgpr_write_b32 a25, v15
	v_accvgpr_write_b32 a4, v38
	;; [unrolled: 1-line block ×3, first 2 shown]
	v_add_u32_e32 v10, v6, v8
	v_accvgpr_write_b32 a21, v9
	v_accvgpr_write_b32 a0, v12
	;; [unrolled: 1-line block ×10, first 2 shown]
	v_ashrrev_i32_e32 v11, 31, v10
	s_mov_b64 s[64:65], 0
.LBB6_474:                              ;   Parent Loop BB6_397 Depth=1
                                        ; =>  This Inner Loop Header: Depth=2
	s_waitcnt lgkmcnt(0)
	v_lshl_add_u64 v[12:13], v[0:1], 0, v[10:11]
	global_load_dwordx4 v[28:31], v[12:13], off nt
	v_lshl_add_u64 v[10:11], v[10:11], 0, v[32:33]
	v_sub_u32_e32 v4, v4, v60
	v_cmp_gt_i32_e64 s[16:17], 16, v4
	v_mov_b32_e32 v8, 0
	v_mov_b32_e32 v9, 0
	;; [unrolled: 1-line block ×8, first 2 shown]
	v_sub_u32_e32 v3, v3, v54
	s_or_b64 s[64:65], s[16:17], s[64:65]
	v_mov_b32_e32 v6, 0
	v_mov_b32_e32 v15, 0
	;; [unrolled: 1-line block ×8, first 2 shown]
	s_waitcnt vmcnt(0)
	v_and_b32_e32 v27, 0xff, v28
	v_bfe_u32 v32, v28, 8, 8
	v_lshrrev_b32_e32 v33, 24, v28
	v_bfe_u32 v28, v28, 16, 8
	v_and_b32_e32 v34, 0xff, v29
	v_bfe_u32 v35, v29, 8, 8
	v_lshrrev_b32_e32 v36, 24, v29
	v_bfe_u32 v29, v29, 16, 8
	;; [unrolled: 4-line block ×4, first 2 shown]
	v_cvt_f32_bf8_sdwa v27, v27 src0_sel:BYTE_0
	v_cvt_f32_bf8_sdwa v32, v32 src0_sel:BYTE_0
	;; [unrolled: 1-line block ×16, first 2 shown]
	v_mul_f32_e32 v27, v5, v27
	v_mul_f32_e32 v32, v5, v32
	;; [unrolled: 1-line block ×9, first 2 shown]
	v_med3_f32 v51, v27, s69, v59
	v_med3_f32 v52, v32, s69, v59
	v_cmp_nlg_f32_e64 s[36:37], |v27|, s68
	v_cmp_nlg_f32_e64 s[38:39], |v32|, s68
	v_mul_f32_e32 v33, v5, v33
	v_mul_f32_e32 v34, v5, v34
	;; [unrolled: 1-line block ×7, first 2 shown]
	v_med3_f32 v53, v28, s69, v59
	v_med3_f32 v40, v35, s69, v59
	v_cmp_nlg_f32_e64 s[18:19], |v35|, s68
	v_med3_f32 v41, v29, s69, v59
	v_cmp_nlg_f32_e64 s[20:21], |v29|, s68
	;; [unrolled: 2-line block ×4, first 2 shown]
	v_cndmask_b32_e64 v27, v51, v27, s[36:37]
	v_med3_f32 v51, v49, s69, v59
	v_cmp_nlg_f32_e64 s[36:37], |v49|, s68
	v_cndmask_b32_e64 v32, v52, v32, s[38:39]
	v_med3_f32 v52, v31, s69, v59
	v_cmp_nlg_f32_e64 s[38:39], |v31|, s68
	v_cmp_nlg_f32_e64 s[40:41], |v28|, s68
	v_med3_f32 v54, v33, s69, v59
	v_med3_f32 v55, v34, s69, v59
	v_cmp_nlg_f32_e64 s[16:17], |v34|, s68
	v_med3_f32 v42, v36, s69, v59
	v_cmp_nlg_f32_e64 s[22:23], |v36|, s68
	;; [unrolled: 2-line block ×5, first 2 shown]
	v_cndmask_b32_e64 v28, v53, v28, s[40:41]
	v_med3_f32 v53, v50, s69, v59
	v_cmp_nlg_f32_e64 s[40:41], |v50|, s68
	v_cmp_nlg_f32_e64 s[42:43], |v33|, s68
	v_cndmask_b32_e64 v35, v40, v35, s[18:19]
	v_cndmask_b32_e64 v29, v41, v29, s[20:21]
	;; [unrolled: 1-line block ×13, first 2 shown]
	v_cvt_pk_bf8_f32 v8, v32, v32
	v_cvt_pk_bf8_f32 v9, v28, v28
	;; [unrolled: 1-line block ×16, first 2 shown]
	v_lshlrev_b32_e32 v8, 8, v8
	v_and_b32_e32 v9, 0xff, v9
	v_lshlrev_b32_e32 v16, 8, v16
	v_and_b32_e32 v17, 0xff, v17
	;; [unrolled: 2-line block ×4, first 2 shown]
	v_accvgpr_read_b32 v55, a33
	v_accvgpr_read_b32 v32, a44
	v_lshlrev_b32_e32 v15, 24, v15
	v_lshlrev_b32_e32 v18, 24, v18
	;; [unrolled: 1-line block ×5, first 2 shown]
	v_perm_b32 v6, v8, v6, s70
	v_lshlrev_b32_e32 v8, 16, v17
	v_perm_b32 v16, v16, v14, s70
	v_lshlrev_b32_e32 v17, 16, v21
	;; [unrolled: 2-line block ×3, first 2 shown]
	v_perm_b32 v21, v24, v23, s70
	v_accvgpr_read_b32 v54, a32
	v_accvgpr_read_b32 v33, a45
	v_or3_b32 v14, v15, v9, v6
	v_or3_b32 v15, v18, v8, v16
	;; [unrolled: 1-line block ×4, first 2 shown]
	global_store_dwordx4 v[12:13], v[14:17], off nt
	s_andn2_b64 exec, exec, s[64:65]
	s_cbranch_execnz .LBB6_474
; %bb.475:                              ;   in Loop: Header=BB6_397 Depth=1
	s_or_b64 exec, exec, s[64:65]
	v_accvgpr_read_b32 v21, a7
	v_accvgpr_read_b32 v25, a9
	;; [unrolled: 1-line block ×31, first 2 shown]
	v_mov_b32_e32 v35, 1
	v_accvgpr_read_b32 v12, a0
	v_accvgpr_read_b32 v9, a21
.LBB6_476:                              ;   in Loop: Header=BB6_397 Depth=1
	s_or_b64 exec, exec, s[62:63]
	v_and_b32_e32 v0, 15, v9
	v_cndmask_b32_e32 v6, v7, v0, vcc
	v_cmp_ne_u32_e64 s[16:17], 0, v6
	s_mov_b64 s[18:19], 0
	v_mov_b32_e32 v62, 0
                                        ; implicit-def: $vgpr4
                                        ; implicit-def: $vgpr10
	s_and_saveexec_b64 s[20:21], s[16:17]
	s_cbranch_execz .LBB6_478
; %bb.477:                              ;   in Loop: Header=BB6_397 Depth=1
	v_sub_u32_e32 v0, v7, v0
	v_and_b32_e32 v1, 0x3ffffc00, v9
	v_cndmask_b32_e32 v0, 0, v0, vcc
	v_cmp_lt_i32_e32 vcc, 0, v3
	v_add_u32_e32 v62, v0, v1
	s_mov_b64 s[18:19], exec
	v_cndmask_b32_e32 v0, 0, v54, vcc
	v_sub_u32_e32 v0, v0, v3
	v_lshl_add_u32 v4, v0, 6, v2
	v_ashrrev_i32_e32 v0, 31, v4
	v_lshrrev_b32_e32 v0, 26, v0
	v_add_u32_e32 v0, v4, v0
	v_ashrrev_i32_e32 v10, 6, v0
.LBB6_478:                              ;   in Loop: Header=BB6_397 Depth=1
	s_or_b64 exec, exec, s[20:21]
	s_and_b64 s[18:19], s[18:19], exec
.LBB6_479:                              ;   in Loop: Header=BB6_397 Depth=1
	s_or_b64 exec, exec, s[60:61]
	s_and_saveexec_b64 s[16:17], s[18:19]
	s_cbranch_execz .LBB6_488
.LBB6_480:                              ;   in Loop: Header=BB6_397 Depth=1
	v_ashrrev_i32_e32 v0, 31, v6
	v_lshrrev_b32_e32 v0, 21, v0
	v_add_u32_e32 v0, v6, v0
	v_ashrrev_i32_e32 v1, 11, v0
	v_sub_u32_e32 v7, v1, v10
	v_ashrrev_i32_e32 v0, 31, v4
	v_cmp_lt_i32_e32 vcc, 0, v7
	v_lshrrev_b32_e32 v2, 26, v0
	s_and_saveexec_b64 s[18:19], vcc
	s_cbranch_execz .LBB6_484
; %bb.481:                              ;   in Loop: Header=BB6_397 Depth=1
	v_accvgpr_write_b32 a47, v1
	s_trap 2
	ds_read_b64 v[0:1], v0
	v_accvgpr_write_b32 a11, v2
	v_add_u32_e32 v2, v4, v2
	v_and_b32_e32 v2, 0xffffffc0, v2
	v_sub_u32_e32 v2, v4, v2
	v_lshlrev_b32_e32 v3, 11, v10
	v_accvgpr_write_b32 a34, v40
	v_accvgpr_write_b32 a27, v19
	;; [unrolled: 1-line block ×5, first 2 shown]
	v_add3_u32 v10, v62, v2, v3
	v_accvgpr_write_b32 a43, v9
	v_accvgpr_write_b32 a46, v12
	;; [unrolled: 1-line block ×12, first 2 shown]
	v_ashrrev_i32_e32 v11, 31, v10
	s_mov_b64 s[20:21], 0
	s_waitcnt lgkmcnt(0)
	v_mov_b64_e32 v[12:13], v[0:1]
	v_mov_b64_e32 v[8:9], v[54:55]
	;; [unrolled: 1-line block ×3, first 2 shown]
.LBB6_482:                              ;   Parent Loop BB6_397 Depth=1
                                        ; =>  This Inner Loop Header: Depth=2
	v_lshl_add_u64 v[16:17], v[10:11], 0, v[12:13]
	s_trap 2
	ds_read_b32 v3, v0
	flat_load_ubyte v30, v[16:17] nt
	flat_load_ubyte v31, v[16:17] offset:64 nt
	flat_load_ubyte v32, v[16:17] offset:128 nt
	;; [unrolled: 1-line block ×30, first 2 shown]
	s_nop 0
	flat_load_ubyte v16, v[16:17] offset:1984 nt
	v_mov_b32_e32 v18, 0
	v_mov_b32_e32 v19, 0
	v_mov_b32_e32 v20, 0
	s_waitcnt lgkmcnt(0)
	v_and_b32_e32 v3, 0xff, v3
	v_cvt_f32_bf8_sdwa v3, v3 src0_sel:BYTE_0
	v_mov_b32_e32 v21, 0
	v_sub_u32_e32 v7, v7, v8
	v_mov_b32_e32 v22, 0
	v_mov_b32_e32 v23, 0
	;; [unrolled: 1-line block ×9, first 2 shown]
	v_lshl_add_u64 v[14:15], v[10:11], 0, v[0:1]
	v_lshl_add_u64 v[12:13], v[12:13], 0, v[4:5]
	;; [unrolled: 1-line block ×3, first 2 shown]
	s_waitcnt vmcnt(0)
	v_cvt_f32_bf8_sdwa v17, v30 src0_sel:BYTE_0
	v_cvt_f32_bf8_sdwa v30, v31 src0_sel:BYTE_0
	;; [unrolled: 1-line block ×32, first 2 shown]
	v_mul_f32_e32 v17, v3, v17
	v_mul_f32_e32 v30, v3, v30
	;; [unrolled: 1-line block ×32, first 2 shown]
	v_med3_f32 v16, v17, s69, v59
	v_cmp_nlg_f32_e64 vcc, |v17|, s68
	s_nop 1
	v_cndmask_b32_e32 v16, v16, v17, vcc
	v_med3_f32 v17, v30, s69, v59
	v_cmp_nlg_f32_e64 vcc, |v30|, s68
	v_cvt_pk_bf8_f32 v18, v16, v16
	v_mov_b32_e32 v16, 0
	v_cndmask_b32_e32 v17, v17, v30, vcc
	v_med3_f32 v30, v31, s69, v59
	v_cmp_nlg_f32_e64 vcc, |v31|, s68
	v_cvt_pk_bf8_f32 v19, v17, v17
	v_mov_b32_e32 v17, 0
	v_cndmask_b32_e32 v30, v30, v31, vcc
	v_med3_f32 v31, v32, s69, v59
	v_cmp_nlg_f32_e64 vcc, |v32|, s68
	v_cvt_pk_bf8_f32 v20, v30, v30
	v_mov_b32_e32 v30, 0
	v_cndmask_b32_e32 v31, v31, v32, vcc
	v_med3_f32 v32, v33, s69, v59
	v_cmp_nlg_f32_e64 vcc, |v33|, s68
	v_cvt_pk_bf8_f32 v21, v31, v31
	v_mov_b32_e32 v31, 0
	v_cndmask_b32_e32 v32, v32, v33, vcc
	v_med3_f32 v33, v34, s69, v59
	v_cmp_nlg_f32_e64 vcc, |v34|, s68
	v_cvt_pk_bf8_f32 v22, v32, v32
	v_mov_b32_e32 v32, 0
	v_cndmask_b32_e32 v33, v33, v34, vcc
	v_med3_f32 v34, v35, s69, v59
	v_cmp_nlg_f32_e64 vcc, |v35|, s68
	v_cvt_pk_bf8_f32 v23, v33, v33
	v_mov_b32_e32 v33, 0
	v_cndmask_b32_e32 v34, v34, v35, vcc
	v_med3_f32 v35, v36, s69, v59
	v_cmp_nlg_f32_e64 vcc, |v36|, s68
	v_cvt_pk_bf8_f32 v24, v34, v34
	v_mov_b32_e32 v34, 0
	v_cndmask_b32_e32 v35, v35, v36, vcc
	v_med3_f32 v36, v37, s69, v59
	v_cmp_nlg_f32_e64 vcc, |v37|, s68
	v_cvt_pk_bf8_f32 v25, v35, v35
	v_mov_b32_e32 v35, 0
	v_cndmask_b32_e32 v36, v36, v37, vcc
	v_med3_f32 v37, v38, s69, v59
	v_cmp_nlg_f32_e64 vcc, |v38|, s68
	v_cvt_pk_bf8_f32 v26, v36, v36
	v_mov_b32_e32 v36, 0
	v_cndmask_b32_e32 v37, v37, v38, vcc
	v_med3_f32 v38, v39, s69, v59
	v_cmp_nlg_f32_e64 vcc, |v39|, s68
	v_cvt_pk_bf8_f32 v27, v37, v37
	v_mov_b32_e32 v37, 0
	v_cndmask_b32_e32 v38, v38, v39, vcc
	v_med3_f32 v39, v49, s69, v59
	v_cmp_nlg_f32_e64 vcc, |v49|, s68
	v_cvt_pk_bf8_f32 v28, v38, v38
	v_mov_b32_e32 v38, 0
	v_cndmask_b32_e32 v39, v39, v49, vcc
	v_med3_f32 v49, v50, s69, v59
	v_cmp_nlg_f32_e64 vcc, |v50|, s68
	v_cvt_pk_bf8_f32 v29, v39, v39
	v_mov_b32_e32 v39, 0
	v_cndmask_b32_e32 v49, v49, v50, vcc
	v_med3_f32 v50, v51, s69, v59
	v_cmp_nlg_f32_e64 vcc, |v51|, s68
	v_cvt_pk_bf8_f32 v2, v49, v49
	v_mov_b32_e32 v49, 0
	v_cndmask_b32_e32 v50, v50, v51, vcc
	v_med3_f32 v51, v52, s69, v59
	v_cmp_nlg_f32_e64 vcc, |v52|, s68
	s_nop 1
	v_cndmask_b32_e32 v51, v51, v52, vcc
	v_med3_f32 v52, v53, s69, v59
	v_cmp_nlg_f32_e64 vcc, |v53|, s68
	v_cvt_pk_bf8_f32 v16, v51, v51
	v_mov_b32_e32 v51, 0
	v_cndmask_b32_e32 v52, v52, v53, vcc
	v_med3_f32 v53, v54, s69, v59
	v_cmp_nlg_f32_e64 vcc, |v54|, s68
	v_cvt_pk_bf8_f32 v17, v52, v52
	v_mov_b32_e32 v52, 0
	v_cndmask_b32_e32 v53, v53, v54, vcc
	v_med3_f32 v54, v55, s69, v59
	v_cmp_nlg_f32_e64 vcc, |v55|, s68
	v_cvt_pk_bf8_f32 v30, v53, v53
	v_mov_b32_e32 v53, 0
	v_cndmask_b32_e32 v54, v54, v55, vcc
	v_med3_f32 v55, v48, s69, v59
	v_cmp_nlg_f32_e64 vcc, |v48|, s68
	v_cvt_pk_bf8_f32 v31, v54, v54
	v_mov_b32_e32 v54, 0
	v_cndmask_b32_e32 v48, v55, v48, vcc
	v_med3_f32 v55, v40, s69, v59
	v_cmp_nlg_f32_e64 vcc, |v40|, s68
	v_cvt_pk_bf8_f32 v32, v48, v48
	s_nop 0
	v_cndmask_b32_e32 v55, v55, v40, vcc
	v_med3_f32 v40, v41, s69, v59
	v_cmp_nlg_f32_e64 vcc, |v41|, s68
	v_cvt_pk_bf8_f32 v33, v55, v55
	s_nop 0
	;; [unrolled: 5-line block ×9, first 2 shown]
	v_cndmask_b32_e32 v47, v47, v56, vcc
	v_med3_f32 v56, v57, s69, v59
	v_cmp_nlg_f32_e64 vcc, |v57|, s68
	s_nop 1
	v_cndmask_b32_e32 v56, v56, v57, vcc
	v_med3_f32 v57, v58, s69, v59
	v_cmp_nlg_f32_e64 vcc, |v58|, s68
	v_cvt_pk_bf8_f32 v51, v56, v56
	s_nop 0
	v_cndmask_b32_e32 v57, v57, v58, vcc
	v_med3_f32 v58, v60, s69, v59
	v_cmp_nlg_f32_e64 vcc, |v60|, s68
	v_cvt_pk_bf8_f32 v52, v57, v57
	;; [unrolled: 5-line block ×3, first 2 shown]
	s_nop 0
	v_cndmask_b32_e32 v3, v60, v3, vcc
	v_mov_b32_e32 v60, 0
	v_cmp_gt_i32_e32 vcc, 1, v7
	v_cvt_pk_bf8_f32 v60, v50, v50
	v_mov_b32_e32 v50, 0
	s_or_b64 s[20:21], vcc, s[20:21]
	v_cvt_pk_bf8_f32 v50, v47, v47
	v_cvt_pk_bf8_f32 v54, v3, v3
	flat_store_byte v[14:15], v18 nt
	flat_store_byte v[14:15], v19 offset:64 nt
	flat_store_byte v[14:15], v20 offset:128 nt
	;; [unrolled: 1-line block ×31, first 2 shown]
	s_andn2_b64 exec, exec, s[20:21]
	s_cbranch_execnz .LBB6_482
; %bb.483:                              ;   in Loop: Header=BB6_397 Depth=1
	s_or_b64 exec, exec, s[20:21]
	v_accvgpr_read_b32 v21, a7
	v_accvgpr_read_b32 v25, a9
	;; [unrolled: 1-line block ×28, first 2 shown]
	v_mov_b64_e32 v[54:55], v[8:9]
	v_accvgpr_read_b32 v57, a21
	v_accvgpr_read_b32 v19, a27
	;; [unrolled: 1-line block ×6, first 2 shown]
	v_mov_b64_e32 v[50:51], v[4:5]
	v_accvgpr_read_b32 v52, a48
	v_accvgpr_read_b32 v40, a34
	v_mov_b32_e32 v35, 1
	v_accvgpr_read_b32 v12, a46
	v_accvgpr_read_b32 v9, a43
	;; [unrolled: 1-line block ×5, first 2 shown]
.LBB6_484:                              ;   in Loop: Header=BB6_397 Depth=1
	s_or_b64 exec, exec, s[18:19]
	v_lshlrev_b32_e32 v0, 11, v1
	v_cmp_ne_u32_e32 vcc, v6, v0
	s_and_b64 exec, exec, vcc
	s_cbranch_execz .LBB6_488
; %bb.485:                              ;   in Loop: Header=BB6_397 Depth=1
	v_add_u32_e32 v1, v4, v2
	v_and_b32_e32 v1, 0xffffffc0, v1
	v_sub_u32_e32 v1, v4, v1
	v_lshlrev_b32_e32 v2, 6, v7
	v_sub_u32_e32 v1, v1, v2
	v_add_u32_e32 v3, v0, v1
	v_sub_u32_e32 v2, v6, v3
	v_cmp_lt_i32_e32 vcc, 0, v2
	s_and_b64 exec, exec, vcc
	s_cbranch_execz .LBB6_488
; %bb.486:                              ;   in Loop: Header=BB6_397 Depth=1
	s_trap 2
	ds_read_b64 v[0:1], v0
	v_add_u32_e32 v10, v3, v62
	v_ashrrev_i32_e32 v11, 31, v10
	s_mov_b64 s[18:19], 0
.LBB6_487:                              ;   Parent Loop BB6_397 Depth=1
                                        ; =>  This Inner Loop Header: Depth=2
	s_waitcnt lgkmcnt(0)
	v_lshl_add_u64 v[4:5], v[0:1], 0, v[10:11]
	s_trap 2
	flat_load_ubyte v3, v[4:5] nt
	ds_read_b32 v6, v0
	v_mov_b32_e32 v7, 0
	v_sub_u32_e32 v2, v2, v52
	v_lshl_add_u64 v[10:11], v[10:11], 0, v[52:53]
	s_waitcnt lgkmcnt(0)
	v_and_b32_e32 v6, 0xff, v6
	v_cvt_f32_bf8_sdwa v6, v6 src0_sel:BYTE_0
	s_waitcnt vmcnt(0)
	v_cvt_f32_bf8_sdwa v3, v3 src0_sel:BYTE_0
	s_nop 0
	v_mul_f32_e32 v3, v6, v3
	v_med3_f32 v6, v3, s69, v59
	v_cmp_nlg_f32_e64 vcc, |v3|, s68
	s_nop 1
	v_cndmask_b32_e32 v3, v6, v3, vcc
	v_cvt_pk_bf8_f32 v7, v3, v3
	v_cmp_gt_i32_e32 vcc, 1, v2
	s_or_b64 s[18:19], vcc, s[18:19]
	flat_store_byte v[4:5], v7 nt
	s_andn2_b64 exec, exec, s[18:19]
	s_cbranch_execnz .LBB6_487
.LBB6_488:                              ;   in Loop: Header=BB6_397 Depth=1
	s_or_b64 exec, exec, s[16:17]
	v_cmp_ne_u32_e64 s[16:17], 0, v9
.LBB6_489:                              ;   in Loop: Header=BB6_397 Depth=1
	s_and_saveexec_b64 s[18:19], s[4:5]
	s_cbranch_execz .LBB6_508
; %bb.490:                              ;   in Loop: Header=BB6_397 Depth=1
	s_and_saveexec_b64 s[20:21], s[52:53]
	s_xor_b64 s[20:21], exec, s[20:21]
	s_cbranch_execz .LBB6_505
; %bb.491:                              ;   in Loop: Header=BB6_397 Depth=1
	s_and_saveexec_b64 s[22:23], s[6:7]
	s_cbranch_execz .LBB6_504
; %bb.492:                              ;   in Loop: Header=BB6_397 Depth=1
	s_mov_b64 s[26:27], exec
	v_mbcnt_lo_u32_b32 v0, s26, 0
	v_mbcnt_hi_u32_b32 v0, s27, v0
	v_cmp_eq_u32_e32 vcc, 0, v0
	s_waitcnt lgkmcnt(0)
	s_and_saveexec_b64 s[24:25], vcc
	s_cbranch_execz .LBB6_494
; %bb.493:                              ;   in Loop: Header=BB6_397 Depth=1
	s_bcnt1_i32_b64 s26, s[26:27]
	v_mov_b32_e32 v0, s26
	v_mov_b32_e32 v1, v19
	ds_add_u64 v0, v[0:1]
	s_trap 2
.LBB6_494:                              ;   in Loop: Header=BB6_397 Depth=1
	s_or_b64 exec, exec, s[24:25]
	s_trap 2
	ds_read_b64 v[0:1], v0
	v_lshl_add_u64 v[14:15], v[14:15], 0, v[54:55]
	s_waitcnt lgkmcnt(0)
	v_cmp_lt_u64_e32 vcc, v[0:1], v[14:15]
	s_and_saveexec_b64 s[24:25], vcc
	s_cbranch_execz .LBB6_503
; %bb.495:                              ;   in Loop: Header=BB6_397 Depth=1
	s_mov_b32 s38, 0
	s_mov_b64 s[26:27], 0
                                        ; implicit-def: $sgpr28_sgpr29
                                        ; implicit-def: $sgpr30_sgpr31
	s_branch .LBB6_497
.LBB6_496:                              ;   in Loop: Header=BB6_497 Depth=2
	s_or_b64 exec, exec, s[36:37]
	s_and_b64 vcc, exec, vcc
	s_or_b64 s[26:27], vcc, s[26:27]
	s_andn2_b64 s[28:29], s[28:29], exec
	s_and_b64 vcc, s[30:31], exec
	s_or_b64 s[28:29], s[28:29], vcc
	s_andn2_b64 exec, exec, s[26:27]
	s_cbranch_execz .LBB6_501
.LBB6_497:                              ;   Parent Loop BB6_397 Depth=1
                                        ; =>  This Inner Loop Header: Depth=2
	s_add_i32 s38, s38, 1
	s_cmpk_lg_i32 s38, 0x2710
	s_cselect_b64 s[34:35], -1, 0
	s_and_b64 vcc, exec, s[34:35]
                                        ; implicit-def: $sgpr36_sgpr37
	s_cbranch_vccnz .LBB6_499
; %bb.498:                              ;   in Loop: Header=BB6_497 Depth=2
	s_trap 2
	ds_read_b64 v[0:1], v0
	s_andn2_b64 s[34:35], s[34:35], exec
	s_mov_b32 s38, 0
	s_mov_b64 s[36:37], -1
	s_waitcnt vmcnt(0) lgkmcnt(0)
	flat_load_dword v0, v[0:1] sc0 sc1
	s_waitcnt vmcnt(0) lgkmcnt(0)
	buffer_inv sc0 sc1
	v_cmp_eq_u32_e32 vcc, 0, v0
	s_and_b64 vcc, vcc, exec
	s_or_b64 s[34:35], s[34:35], vcc
.LBB6_499:                              ;   in Loop: Header=BB6_497 Depth=2
	s_andn2_b64 s[30:31], s[30:31], exec
	s_and_b64 s[36:37], s[36:37], exec
	s_mov_b64 vcc, -1
	s_or_b64 s[30:31], s[30:31], s[36:37]
	s_and_saveexec_b64 s[36:37], s[34:35]
	s_cbranch_execz .LBB6_496
; %bb.500:                              ;   in Loop: Header=BB6_497 Depth=2
	s_sleep 1
	s_trap 2
	ds_read_b64 v[0:1], v0
	s_andn2_b64 s[30:31], s[30:31], exec
	s_waitcnt lgkmcnt(0)
	v_cmp_ge_u64_e32 vcc, v[0:1], v[14:15]
	s_orn2_b64 vcc, vcc, exec
	s_branch .LBB6_496
.LBB6_501:                              ;   in Loop: Header=BB6_397 Depth=1
	s_or_b64 exec, exec, s[26:27]
	s_and_saveexec_b64 s[26:27], s[28:29]
	s_xor_b64 s[26:27], exec, s[26:27]
	s_cbranch_execz .LBB6_503
; %bb.502:                              ;   in Loop: Header=BB6_397 Depth=1
	ds_write_b32 v0, v35
	s_trap 2
.LBB6_503:                              ;   in Loop: Header=BB6_397 Depth=1
	s_or_b64 exec, exec, s[24:25]
	;;#ASMSTART
	s_wakeup
	;;#ASMEND
.LBB6_504:                              ;   in Loop: Header=BB6_397 Depth=1
	s_or_b64 exec, exec, s[22:23]
.LBB6_505:                              ;   in Loop: Header=BB6_397 Depth=1
	s_andn2_saveexec_b64 s[20:21], s[20:21]
	s_cbranch_execz .LBB6_507
; %bb.506:                              ;   in Loop: Header=BB6_397 Depth=1
	s_waitcnt lgkmcnt(0)
	s_barrier
.LBB6_507:                              ;   in Loop: Header=BB6_397 Depth=1
	s_or_b64 exec, exec, s[20:21]
.LBB6_508:                              ;   in Loop: Header=BB6_397 Depth=1
	s_or_b64 exec, exec, s[18:19]
	v_and_b32_e32 v0, 16, v56
	v_cmp_ne_u32_e32 vcc, 0, v0
	s_and_b64 s[18:19], vcc, s[16:17]
	s_and_saveexec_b64 s[16:17], s[18:19]
	s_cbranch_execz .LBB6_510
; %bb.509:                              ;   in Loop: Header=BB6_397 Depth=1
	buffer_wbl2 sc1
	s_waitcnt vmcnt(0) lgkmcnt(0)
	buffer_inv sc1
.LBB6_510:                              ;   in Loop: Header=BB6_397 Depth=1
	s_or_b64 exec, exec, s[16:17]
	v_cmp_ne_u32_e32 vcc, 0, v0
	s_and_saveexec_b64 s[16:17], vcc
	s_cbranch_execz .LBB6_514
; %bb.511:                              ;   in Loop: Header=BB6_397 Depth=1
	s_and_saveexec_b64 s[18:19], s[14:15]
	s_cbranch_execz .LBB6_513
; %bb.512:                              ;   in Loop: Header=BB6_397 Depth=1
	flat_store_dword v[48:49], v35 sc0 sc1
.LBB6_513:                              ;   in Loop: Header=BB6_397 Depth=1
	s_or_b64 exec, exec, s[18:19]
	v_lshl_add_u64 v[28:29], v[28:29], 0, 1
	flat_store_dwordx2 v[30:31], v[28:29] sc0 sc1
.LBB6_514:                              ;   in Loop: Header=BB6_397 Depth=1
	s_or_b64 exec, exec, s[16:17]
	v_mov_b32_e32 v2, v18
.LBB6_515:                              ;   in Loop: Header=BB6_397 Depth=1
	s_or_b64 exec, exec, s[58:59]
	s_and_saveexec_b64 s[18:19], s[56:57]
	s_cbranch_execz .LBB6_396
; %bb.516:                              ;   in Loop: Header=BB6_397 Depth=1
	v_and_b32_e32 v0, 8, v56
	v_cmp_ne_u32_e32 vcc, 0, v0
	s_mov_b64 s[20:21], -1
	v_lshl_add_u64 v[10:11], v[28:29], 0, 1
	s_and_saveexec_b64 s[16:17], vcc
	s_cbranch_execz .LBB6_528
; %bb.517:                              ;   in Loop: Header=BB6_397 Depth=1
	v_lshl_add_u64 v[4:5], v[38:39], 0, 8
	v_lshl_add_u64 v[0:1], v[28:29], 0, 1
	v_cmp_lt_u64_e32 vcc, v[4:5], v[0:1]
	v_mov_b32_e32 v3, 1
	s_and_saveexec_b64 s[20:21], vcc
	s_cbranch_execz .LBB6_527
; %bb.518:                              ;   in Loop: Header=BB6_397 Depth=1
	s_mov_b64 s[22:23], 0
	v_mov_b32_e32 v3, 0
                                        ; implicit-def: $sgpr24_sgpr25
	s_branch .LBB6_522
.LBB6_519:                              ;   in Loop: Header=BB6_522 Depth=2
	s_or_b64 exec, exec, s[34:35]
	v_mov_b32_e32 v4, 0
	s_orn2_b64 s[30:31], s[30:31], exec
.LBB6_520:                              ;   in Loop: Header=BB6_522 Depth=2
	s_or_b64 exec, exec, s[28:29]
	s_andn2_b64 s[24:25], s[24:25], exec
	s_and_b64 s[28:29], s[30:31], exec
	s_or_b64 s[24:25], s[24:25], s[28:29]
	v_mov_b32_e32 v3, v4
.LBB6_521:                              ;   in Loop: Header=BB6_522 Depth=2
	s_or_b64 exec, exec, s[26:27]
	s_waitcnt vmcnt(0) lgkmcnt(0)
	v_lshl_add_u64 v[4:5], v[38:39], 0, 8
	v_cmp_ge_u64_e32 vcc, v[4:5], v[0:1]
	s_xor_b64 s[26:27], s[24:25], -1
	s_or_b64 s[26:27], s[26:27], vcc
	s_and_b64 s[26:27], exec, s[26:27]
	s_or_b64 s[22:23], s[26:27], s[22:23]
	s_andn2_b64 exec, exec, s[22:23]
	s_cbranch_execz .LBB6_526
.LBB6_522:                              ;   Parent Loop BB6_397 Depth=1
                                        ; =>  This Inner Loop Header: Depth=2
	s_sleep 1
	flat_load_dwordx2 v[38:39], v[30:31] sc0 sc1
	v_and_b32_e32 v4, 64, v56
	v_cmp_eq_u32_e32 vcc, 0, v4
	s_andn2_b64 s[24:25], s[24:25], exec
	s_and_saveexec_b64 s[26:27], vcc
	s_cbranch_execz .LBB6_521
; %bb.523:                              ;   in Loop: Header=BB6_522 Depth=2
	v_add_u32_e32 v4, 1, v3
	v_cmp_lt_i32_e32 vcc, s67, v3
	s_mov_b64 s[30:31], -1
	s_and_saveexec_b64 s[28:29], vcc
	s_cbranch_execz .LBB6_520
; %bb.524:                              ;   in Loop: Header=BB6_522 Depth=2
	s_trap 2
	ds_read_b64 v[4:5], v0
	s_waitcnt vmcnt(0) lgkmcnt(0)
	flat_load_dword v3, v[4:5] sc0 sc1
	s_waitcnt vmcnt(0) lgkmcnt(0)
	buffer_inv sc0 sc1
	v_cmp_ne_u32_e32 vcc, 0, v3
	s_and_saveexec_b64 s[34:35], vcc
	s_cbranch_execz .LBB6_519
; %bb.525:                              ;   in Loop: Header=BB6_522 Depth=2
	v_or_b32_e32 v56, 64, v56
	s_xor_b64 s[30:31], exec, -1
	ds_write_b32 v0, v3
	s_trap 2
	s_branch .LBB6_519
.LBB6_526:                              ;   in Loop: Header=BB6_397 Depth=1
	s_or_b64 exec, exec, s[22:23]
	v_and_b32_e32 v3, 8, v56
.LBB6_527:                              ;   in Loop: Header=BB6_397 Depth=1
	s_or_b64 exec, exec, s[20:21]
	v_cmp_eq_u32_e32 vcc, 0, v3
	s_orn2_b64 s[20:21], vcc, exec
	;;#ASMSTART
	s_wakeup
	;;#ASMEND
.LBB6_528:                              ;   in Loop: Header=BB6_397 Depth=1
	s_or_b64 exec, exec, s[16:17]
	v_sub_u32_e32 v0, v12, v2
	s_xor_b64 s[16:17], s[20:21], -1
	v_min_i32_e32 v0, v18, v0
	s_and_saveexec_b64 s[20:21], s[16:17]
	s_cbranch_execz .LBB6_538
; %bb.529:                              ;   in Loop: Header=BB6_397 Depth=1
	v_and_b32_e32 v1, 0x100, v56
	v_cmp_ne_u32_e32 vcc, 0, v1
	v_and_b32_e32 v2, 7, v28
	s_mov_b64 s[16:17], -1
                                        ; implicit-def: $vgpr8_vgpr9
	s_and_saveexec_b64 s[22:23], vcc
	s_cbranch_execz .LBB6_533
; %bb.530:                              ;   in Loop: Header=BB6_397 Depth=1
	v_mad_u64_u32 v[12:13], s[16:17], v2, 24, v[26:27]
	flat_load_dword v3, v[12:13]
	v_ashrrev_i32_e32 v1, 31, v0
	flat_store_dwordx2 v[12:13], v[0:1] offset:8
                                        ; implicit-def: $vgpr8_vgpr9
	s_waitcnt vmcnt(0) lgkmcnt(0)
	v_cmp_ne_u32_e32 vcc, 1, v3
	v_cmp_eq_u32_e64 s[16:17], 1, v3
	s_and_saveexec_b64 s[24:25], s[16:17]
	s_cbranch_execz .LBB6_532
; %bb.531:                              ;   in Loop: Header=BB6_397 Depth=1
	flat_load_dword v8, v[12:13] offset:4 sc0 sc1
	s_waitcnt vmcnt(0) lgkmcnt(0)
	v_ashrrev_i32_e32 v9, 31, v8
.LBB6_532:                              ;   in Loop: Header=BB6_397 Depth=1
	s_or_b64 exec, exec, s[24:25]
	s_orn2_b64 s[16:17], vcc, exec
.LBB6_533:                              ;   in Loop: Header=BB6_397 Depth=1
	s_or_b64 exec, exec, s[22:23]
	s_and_saveexec_b64 s[22:23], s[16:17]
; %bb.534:                              ;   in Loop: Header=BB6_397 Depth=1
	v_mad_i64_i32 v[8:9], s[16:17], v2, v34, 0
; %bb.535:                              ;   in Loop: Header=BB6_397 Depth=1
	s_or_b64 exec, exec, s[22:23]
	v_and_b32_e32 v1, 0x2000, v56
	v_lshl_add_u64 v[2:3], v[36:37], 0, v[8:9]
	v_cmp_ne_u32_e32 vcc, 0, v1
	ds_write_b64 v0, v[2:3] offset:784
	s_and_saveexec_b64 s[16:17], vcc
	s_cbranch_execz .LBB6_537
; %bb.536:                              ;   in Loop: Header=BB6_397 Depth=1
	ds_read_b64 v[2:3], v0 offset:584
	s_waitcnt lgkmcnt(0)
	v_lshl_add_u64 v[2:3], v[2:3], 0, 1
	ds_write_b64 v0, v[2:3] offset:584
.LBB6_537:                              ;   in Loop: Header=BB6_397 Depth=1
	s_or_b64 exec, exec, s[16:17]
	v_mov_b64_e32 v[28:29], v[10:11]
.LBB6_538:                              ;   in Loop: Header=BB6_397 Depth=1
	s_or_b64 exec, exec, s[20:21]
	s_and_saveexec_b64 s[16:17], s[4:5]
	s_cbranch_execz .LBB6_557
; %bb.539:                              ;   in Loop: Header=BB6_397 Depth=1
	s_and_saveexec_b64 s[20:21], s[52:53]
	s_xor_b64 s[20:21], exec, s[20:21]
	s_cbranch_execz .LBB6_554
; %bb.540:                              ;   in Loop: Header=BB6_397 Depth=1
	s_and_saveexec_b64 s[22:23], s[6:7]
	s_cbranch_execz .LBB6_553
; %bb.541:                              ;   in Loop: Header=BB6_397 Depth=1
	s_mov_b64 s[26:27], exec
	v_mbcnt_lo_u32_b32 v1, s26, 0
	v_mbcnt_hi_u32_b32 v1, s27, v1
	v_cmp_eq_u32_e32 vcc, 0, v1
	s_waitcnt lgkmcnt(0)
	s_and_saveexec_b64 s[24:25], vcc
	s_cbranch_execz .LBB6_543
; %bb.542:                              ;   in Loop: Header=BB6_397 Depth=1
	s_bcnt1_i32_b64 s26, s[26:27]
	v_mov_b32_e32 v18, s26
	ds_add_u64 v0, v[18:19]
	s_trap 2
.LBB6_543:                              ;   in Loop: Header=BB6_397 Depth=1
	s_or_b64 exec, exec, s[24:25]
	s_trap 2
	ds_read_b64 v[2:3], v0
	v_lshl_add_u64 v[14:15], v[14:15], 0, v[54:55]
	s_waitcnt lgkmcnt(0)
	v_cmp_lt_u64_e32 vcc, v[2:3], v[14:15]
	s_and_saveexec_b64 s[24:25], vcc
	s_cbranch_execz .LBB6_552
; %bb.544:                              ;   in Loop: Header=BB6_397 Depth=1
	s_mov_b32 s38, 0
	s_mov_b64 s[26:27], 0
                                        ; implicit-def: $sgpr28_sgpr29
                                        ; implicit-def: $sgpr30_sgpr31
	s_branch .LBB6_546
.LBB6_545:                              ;   in Loop: Header=BB6_546 Depth=2
	s_or_b64 exec, exec, s[36:37]
	s_and_b64 vcc, exec, vcc
	s_or_b64 s[26:27], vcc, s[26:27]
	s_andn2_b64 s[28:29], s[28:29], exec
	s_and_b64 vcc, s[30:31], exec
	s_or_b64 s[28:29], s[28:29], vcc
	s_andn2_b64 exec, exec, s[26:27]
	s_cbranch_execz .LBB6_550
.LBB6_546:                              ;   Parent Loop BB6_397 Depth=1
                                        ; =>  This Inner Loop Header: Depth=2
	s_add_i32 s38, s38, 1
	s_cmpk_lg_i32 s38, 0x2710
	s_cselect_b64 s[34:35], -1, 0
	s_and_b64 vcc, exec, s[34:35]
                                        ; implicit-def: $sgpr36_sgpr37
	s_cbranch_vccnz .LBB6_548
; %bb.547:                              ;   in Loop: Header=BB6_546 Depth=2
	s_trap 2
	ds_read_b64 v[2:3], v0
	s_andn2_b64 s[34:35], s[34:35], exec
	s_mov_b32 s38, 0
	s_mov_b64 s[36:37], -1
	s_waitcnt vmcnt(0) lgkmcnt(0)
	flat_load_dword v1, v[2:3] sc0 sc1
	s_waitcnt vmcnt(0) lgkmcnt(0)
	buffer_inv sc0 sc1
	v_cmp_eq_u32_e32 vcc, 0, v1
	s_and_b64 vcc, vcc, exec
	s_or_b64 s[34:35], s[34:35], vcc
.LBB6_548:                              ;   in Loop: Header=BB6_546 Depth=2
	s_andn2_b64 s[30:31], s[30:31], exec
	s_and_b64 s[36:37], s[36:37], exec
	s_mov_b64 vcc, -1
	s_or_b64 s[30:31], s[30:31], s[36:37]
	s_and_saveexec_b64 s[36:37], s[34:35]
	s_cbranch_execz .LBB6_545
; %bb.549:                              ;   in Loop: Header=BB6_546 Depth=2
	s_sleep 1
	s_trap 2
	ds_read_b64 v[2:3], v0
	s_andn2_b64 s[30:31], s[30:31], exec
	s_waitcnt lgkmcnt(0)
	v_cmp_ge_u64_e32 vcc, v[2:3], v[14:15]
	s_orn2_b64 vcc, vcc, exec
	s_branch .LBB6_545
.LBB6_550:                              ;   in Loop: Header=BB6_397 Depth=1
	s_or_b64 exec, exec, s[26:27]
	s_and_saveexec_b64 s[26:27], s[28:29]
	s_xor_b64 s[26:27], exec, s[26:27]
	s_cbranch_execz .LBB6_552
; %bb.551:                              ;   in Loop: Header=BB6_397 Depth=1
	ds_write_b32 v0, v35
	s_trap 2
.LBB6_552:                              ;   in Loop: Header=BB6_397 Depth=1
	s_or_b64 exec, exec, s[24:25]
	;;#ASMSTART
	s_wakeup
	;;#ASMEND
.LBB6_553:                              ;   in Loop: Header=BB6_397 Depth=1
	s_or_b64 exec, exec, s[22:23]
.LBB6_554:                              ;   in Loop: Header=BB6_397 Depth=1
	s_andn2_saveexec_b64 s[20:21], s[20:21]
	s_cbranch_execz .LBB6_556
; %bb.555:                              ;   in Loop: Header=BB6_397 Depth=1
	s_waitcnt lgkmcnt(0)
	s_barrier
.LBB6_556:                              ;   in Loop: Header=BB6_397 Depth=1
	s_or_b64 exec, exec, s[20:21]
.LBB6_557:                              ;   in Loop: Header=BB6_397 Depth=1
	s_or_b64 exec, exec, s[16:17]
	s_trap 2
	ds_read_b32 v1, v0
	v_cmp_lt_i32_e32 vcc, 0, v0
	v_and_b32_e32 v0, 16, v56
	s_waitcnt lgkmcnt(0)
	v_readfirstlane_b32 s16, v1
	s_cmp_eq_u32 s16, 0
	s_cselect_b64 s[16:17], -1, 0
	s_and_b64 s[16:17], vcc, s[16:17]
	v_cmp_ne_u32_e32 vcc, 0, v0
	s_and_b64 s[20:21], vcc, s[16:17]
	s_and_saveexec_b64 s[16:17], s[20:21]
	s_cbranch_execz .LBB6_559
; %bb.558:                              ;   in Loop: Header=BB6_397 Depth=1
	buffer_wbl2 sc1
	s_waitcnt vmcnt(0)
	buffer_inv sc1
.LBB6_559:                              ;   in Loop: Header=BB6_397 Depth=1
	s_or_b64 exec, exec, s[16:17]
	v_cmp_ne_u32_e32 vcc, 0, v0
	s_and_saveexec_b64 s[16:17], vcc
	s_cbranch_execz .LBB6_395
; %bb.560:                              ;   in Loop: Header=BB6_397 Depth=1
	s_and_saveexec_b64 s[20:21], s[14:15]
	s_cbranch_execz .LBB6_394
; %bb.561:                              ;   in Loop: Header=BB6_397 Depth=1
	flat_store_dword v[48:49], v35 sc0 sc1
	s_branch .LBB6_394
.LBB6_562:
	s_or_b64 exec, exec, s[50:51]
	v_accvgpr_read_b32 v23, a13
	v_accvgpr_read_b32 v22, a12
.LBB6_563:
	s_or_b64 exec, exec, s[48:49]
.LBB6_564:
	s_or_b64 exec, exec, s[46:47]
	v_and_b32_e32 v0, 0x800, v56
	v_cmp_eq_u32_e32 vcc, 0, v0
	s_and_saveexec_b64 s[0:1], vcc
	s_cbranch_execz .LBB6_599
; %bb.565:
	v_and_b32_e32 v0, 48, v56
	v_cmp_ne_u32_e32 vcc, 0, v0
	s_and_saveexec_b64 s[2:3], vcc
	s_cbranch_execz .LBB6_567
; %bb.566:
	s_waitcnt vmcnt(0) lgkmcnt(0)
	flat_store_dwordx2 v[22:23], v[28:29] offset:104
.LBB6_567:
	s_or_b64 exec, exec, s[2:3]
	s_movk_i32 s2, 0x88
	v_and_b32_e32 v0, 0x88, v56
	v_cmp_eq_u32_e32 vcc, s2, v0
	s_and_saveexec_b64 s[2:3], vcc
	s_cbranch_execz .LBB6_579
; %bb.568:
	s_waitcnt vmcnt(0) lgkmcnt(0)
	v_add_u32_e32 v0, -1, v28
	v_and_b32_e32 v0, 7, v0
	v_mad_u64_u32 v[0:1], s[4:5], v0, 24, v[26:27]
	v_lshl_add_u64 v[0:1], v[0:1], 0, 8
	s_mov_b64 s[4:5], 0
	v_mov_b32_e32 v2, 0
	s_movk_i32 s20, 0x270e
                                        ; implicit-def: $sgpr6_sgpr7
	s_branch .LBB6_573
.LBB6_569:                              ;   in Loop: Header=BB6_573 Depth=1
	s_or_b64 exec, exec, s[18:19]
	v_mov_b32_e32 v3, 0
	s_orn2_b64 s[16:17], s[16:17], exec
.LBB6_570:                              ;   in Loop: Header=BB6_573 Depth=1
	s_or_b64 exec, exec, s[14:15]
	s_and_b64 s[14:15], s[16:17], exec
	v_mov_b32_e32 v2, v3
.LBB6_571:                              ;   in Loop: Header=BB6_573 Depth=1
	s_or_b64 exec, exec, s[12:13]
	s_xor_b64 s[12:13], s[14:15], -1
	s_andn2_b64 s[6:7], s[6:7], exec
	s_and_b64 s[12:13], s[12:13], exec
	s_or_b64 s[6:7], s[6:7], s[12:13]
.LBB6_572:                              ;   in Loop: Header=BB6_573 Depth=1
	s_or_b64 exec, exec, s[10:11]
	s_and_b64 s[10:11], exec, s[6:7]
	s_or_b64 s[4:5], s[10:11], s[4:5]
	s_andn2_b64 exec, exec, s[4:5]
	s_cbranch_execz .LBB6_578
.LBB6_573:                              ; =>This Inner Loop Header: Depth=1
	flat_load_dwordx2 v[4:5], v[0:1] sc0 sc1
	s_waitcnt vmcnt(0)
	s_or_b64 s[6:7], s[6:7], exec
	s_waitcnt lgkmcnt(0)
	v_cmp_ne_u64_e32 vcc, -1, v[4:5]
	s_and_saveexec_b64 s[10:11], vcc
	s_cbranch_execz .LBB6_572
; %bb.574:                              ;   in Loop: Header=BB6_573 Depth=1
	v_and_b32_e32 v3, 64, v56
	v_cmp_eq_u32_e32 vcc, 0, v3
	s_mov_b64 s[14:15], 0
	s_and_saveexec_b64 s[12:13], vcc
	s_cbranch_execz .LBB6_571
; %bb.575:                              ;   in Loop: Header=BB6_573 Depth=1
	v_add_u32_e32 v3, 1, v2
	v_cmp_lt_i32_e32 vcc, s20, v2
	s_mov_b64 s[16:17], -1
	s_and_saveexec_b64 s[14:15], vcc
	s_cbranch_execz .LBB6_570
; %bb.576:                              ;   in Loop: Header=BB6_573 Depth=1
	s_trap 2
	ds_read_b64 v[2:3], v0
	s_waitcnt lgkmcnt(0)
	flat_load_dword v2, v[2:3] sc0 sc1
	s_waitcnt vmcnt(0) lgkmcnt(0)
	buffer_inv sc0 sc1
	v_cmp_ne_u32_e32 vcc, 0, v2
	s_and_saveexec_b64 s[18:19], vcc
	s_cbranch_execz .LBB6_569
; %bb.577:                              ;   in Loop: Header=BB6_573 Depth=1
	v_or_b32_e32 v56, 64, v56
	s_xor_b64 s[16:17], exec, -1
	ds_write_b32 v0, v2
	s_trap 2
	s_branch .LBB6_569
.LBB6_578:
	s_or_b64 exec, exec, s[4:5]
.LBB6_579:
	s_or_b64 exec, exec, s[2:3]
	v_and_b32_e32 v0, 0x2000, v56
	v_cmp_ne_u32_e32 vcc, 0, v0
	s_and_saveexec_b64 s[2:3], vcc
	s_cbranch_execz .LBB6_581
; %bb.580:
	s_trap 2
	scratch_load_dwordx2 v[2:3], off, s33 offset:204 ; 8-byte Folded Reload
	ds_read_b64 v[0:1], v0
	s_waitcnt vmcnt(0) lgkmcnt(0)
	flat_store_dwordx2 v[2:3], v[0:1] offset:16
.LBB6_581:
	s_or_b64 exec, exec, s[2:3]
	v_cmp_ne_u32_e32 vcc, 64, v57
	s_and_b64 exec, exec, vcc
	s_cbranch_execz .LBB6_599
; %bb.582:
	scratch_load_dword v0, off, s33 offset:196 ; 4-byte Folded Reload
	s_waitcnt vmcnt(0)
	v_cmp_ne_u32_sdwa s[2:3], v0, v57 src0_sel:WORD_0 src1_sel:DWORD
	s_and_saveexec_b64 s[4:5], s[2:3]
	s_xor_b64 s[2:3], exec, s[4:5]
	s_cbranch_execz .LBB6_597
; %bb.583:
	v_accvgpr_read_b32 v0, a1
	v_and_b32_e32 v0, 63, v0
	v_cmp_eq_u32_e32 vcc, 0, v0
	s_and_saveexec_b64 s[4:5], vcc
	s_cbranch_execz .LBB6_596
; %bb.584:
	s_mov_b64 s[10:11], exec
	v_mbcnt_lo_u32_b32 v0, s10, 0
	v_mbcnt_hi_u32_b32 v0, s11, v0
	v_cmp_eq_u32_e32 vcc, 0, v0
	s_waitcnt lgkmcnt(0)
	s_and_saveexec_b64 s[6:7], vcc
	s_cbranch_execz .LBB6_586
; %bb.585:
	s_bcnt1_i32_b64 s10, s[10:11]
	v_mov_b32_e32 v0, s10
	v_mov_b32_e32 v1, 0
	ds_add_u64 v0, v[0:1]
	s_trap 2
.LBB6_586:
	s_or_b64 exec, exec, s[6:7]
	v_ashrrev_i32_e32 v0, 31, v57
	v_lshrrev_b32_e32 v0, 26, v0
	s_trap 2
	ds_read_b64 v[2:3], v0
	v_add_u32_e32 v0, v57, v0
	v_ashrrev_i32_e32 v0, 6, v0
	v_ashrrev_i32_e32 v1, 31, v0
	v_lshl_add_u64 v[0:1], v[14:15], 0, v[0:1]
	s_waitcnt lgkmcnt(0)
	v_cmp_lt_u64_e32 vcc, v[2:3], v[0:1]
	s_and_saveexec_b64 s[6:7], vcc
	s_cbranch_execz .LBB6_595
; %bb.587:
	s_mov_b32 s22, 0
	s_mov_b64 s[10:11], 0
                                        ; implicit-def: $sgpr12_sgpr13
                                        ; implicit-def: $sgpr14_sgpr15
	s_branch .LBB6_589
.LBB6_588:                              ;   in Loop: Header=BB6_589 Depth=1
	s_or_b64 exec, exec, s[20:21]
	s_and_b64 s[16:17], exec, s[18:19]
	s_or_b64 s[10:11], s[16:17], s[10:11]
	s_andn2_b64 s[12:13], s[12:13], exec
	s_and_b64 s[16:17], s[14:15], exec
	s_or_b64 s[12:13], s[12:13], s[16:17]
	s_andn2_b64 exec, exec, s[10:11]
	s_cbranch_execz .LBB6_593
.LBB6_589:                              ; =>This Inner Loop Header: Depth=1
	s_add_i32 s22, s22, 1
	s_cmpk_lg_i32 s22, 0x2710
	s_cselect_b64 s[16:17], -1, 0
	s_and_b64 vcc, exec, s[16:17]
                                        ; implicit-def: $sgpr20_sgpr21
	s_cbranch_vccnz .LBB6_591
; %bb.590:                              ;   in Loop: Header=BB6_589 Depth=1
	s_trap 2
	ds_read_b64 v[2:3], v0
	s_andn2_b64 s[16:17], s[16:17], exec
	s_mov_b32 s22, 0
	s_mov_b64 s[20:21], -1
	s_waitcnt lgkmcnt(0)
	flat_load_dword v2, v[2:3] sc0 sc1
	s_waitcnt vmcnt(0) lgkmcnt(0)
	buffer_inv sc0 sc1
	v_cmp_eq_u32_e32 vcc, 0, v2
	s_and_b64 s[18:19], vcc, exec
	s_or_b64 s[16:17], s[16:17], s[18:19]
.LBB6_591:                              ;   in Loop: Header=BB6_589 Depth=1
	s_andn2_b64 s[14:15], s[14:15], exec
	s_and_b64 s[20:21], s[20:21], exec
	s_mov_b64 s[18:19], -1
	s_or_b64 s[14:15], s[14:15], s[20:21]
	s_and_saveexec_b64 s[20:21], s[16:17]
	s_cbranch_execz .LBB6_588
; %bb.592:                              ;   in Loop: Header=BB6_589 Depth=1
	s_sleep 1
	s_trap 2
	ds_read_b64 v[2:3], v0
	s_andn2_b64 s[14:15], s[14:15], exec
	s_waitcnt lgkmcnt(0)
	v_cmp_ge_u64_e32 vcc, v[2:3], v[0:1]
	s_orn2_b64 s[18:19], vcc, exec
	s_branch .LBB6_588
.LBB6_593:
	s_or_b64 exec, exec, s[10:11]
	s_and_saveexec_b64 s[10:11], s[12:13]
	s_xor_b64 s[10:11], exec, s[10:11]
	s_cbranch_execz .LBB6_595
; %bb.594:
	v_mov_b32_e32 v0, 1
	ds_write_b32 v0, v0
	s_trap 2
.LBB6_595:
	s_or_b64 exec, exec, s[6:7]
	;;#ASMSTART
	s_wakeup
	;;#ASMEND
.LBB6_596:
	s_or_b64 exec, exec, s[4:5]
.LBB6_597:
	s_andn2_saveexec_b64 s[2:3], s[2:3]
	s_cbranch_execz .LBB6_599
; %bb.598:
	s_waitcnt lgkmcnt(0)
	s_barrier
.LBB6_599:
	s_or_b64 exec, exec, s[0:1]
.LBB6_600:
	s_andn2_saveexec_b64 s[22:23], s[44:45]
	s_cbranch_execz .LBB6_602
; %bb.601:
	s_getpc_b64 s[0:1]
	s_add_u32 s0, s0, __PRETTY_FUNCTION__._ZN10PrimitivesI19__hip_fp8_e5m2_fnuz13FuncPreMulSumIS0_E12FanSymmetricILi1EELi0E11ProtoSimpleILi1ELi1ELi0ELi4ELi0ELi0EELi0ELb0ELi0ELi0ELi0EEC2EiiPKiS9_PKvPvmhhhP15ncclDevWorkCollP14ncclDevWorkP2pii@rel32@lo+4
	s_addc_u32 s1, s1, __PRETTY_FUNCTION__._ZN10PrimitivesI19__hip_fp8_e5m2_fnuz13FuncPreMulSumIS0_E12FanSymmetricILi1EELi0E11ProtoSimpleILi1ELi1ELi0ELi4ELi0ELi0EELi0ELb0ELi0ELi0ELi0EEC2EiiPKiS9_PKvPvmhhhP15ncclDevWorkCollP14ncclDevWorkP2pii@rel32@hi+12
	v_mov_b32_e32 v0, s0
	v_mov_b32_e32 v1, s1
	s_getpc_b64 s[2:3]
	s_add_u32 s2, s2, __assert_fail@rel32@lo+4
	s_addc_u32 s3, s3, __assert_fail@rel32@hi+12
	s_swappc_b64 s[30:31], s[2:3]
	; divergent unreachable
.LBB6_602:
	s_or_b64 exec, exec, s[22:23]
	scratch_load_dword a63, off, s33        ; 4-byte Folded Reload
	scratch_load_dword a62, off, s33 offset:4 ; 4-byte Folded Reload
	scratch_load_dword a61, off, s33 offset:8 ; 4-byte Folded Reload
	;; [unrolled: 1-line block ×46, first 2 shown]
	v_readlane_b32 s30, v63, 61
	v_readlane_b32 s31, v63, 62
	;; [unrolled: 1-line block ×64, first 2 shown]
	s_or_saveexec_b64 s[2:3], -1
	scratch_load_dword v63, off, s33 offset:220 ; 4-byte Folded Reload
	s_mov_b64 exec, s[2:3]
	s_addk_i32 s32, 0xff10
	s_mov_b32 s33, s0
	s_waitcnt vmcnt(0) lgkmcnt(0)
	s_setpc_b64 s[30:31]
.Lfunc_end6:
	.size	_ZN12_GLOBAL__N_17runRingI19__hip_fp8_e5m2_fnuz13FuncPreMulSumIS1_E11ProtoSimpleILi1ELi1ELi0ELi4ELi0ELi0EELi0ELi4ELi0EEEviiP15ncclDevWorkColl, .Lfunc_end6-_ZN12_GLOBAL__N_17runRingI19__hip_fp8_e5m2_fnuz13FuncPreMulSumIS1_E11ProtoSimpleILi1ELi1ELi0ELi4ELi0ELi0EELi0ELi4ELi0EEEviiP15ncclDevWorkColl
                                        ; -- End function
	.section	.AMDGPU.csdata,"",@progbits
; Function info:
; codeLenInByte = 58224
; NumSgprs: 101
; NumVgprs: 64
; NumAgprs: 64
; TotalNumVgprs: 128
; ScratchSize: 304
; MemoryBound: 1
	.text
	.p2align	2                               ; -- Begin function _Z53ncclDevFunc_Reduce_RING_SIMPLE_PreMulSum_f8e5m2_0_0_4v
	.type	_Z53ncclDevFunc_Reduce_RING_SIMPLE_PreMulSum_f8e5m2_0_0_4v,@function
_Z53ncclDevFunc_Reduce_RING_SIMPLE_PreMulSum_f8e5m2_0_0_4v: ; @_Z53ncclDevFunc_Reduce_RING_SIMPLE_PreMulSum_f8e5m2_0_0_4v
; %bb.0:
	s_waitcnt vmcnt(0) expcnt(0) lgkmcnt(0)
	s_mov_b32 s0, s33
	s_mov_b32 s33, s32
	s_or_saveexec_b64 s[2:3], -1
	scratch_store_dword off, a32, s33 offset:12 ; 4-byte Folded Spill
	scratch_store_dword off, v63, s33 offset:16 ; 4-byte Folded Spill
	;; [unrolled: 1-line block ×5, first 2 shown]
	s_mov_b64 exec, s[2:3]
	v_writelane_b32 v45, s0, 6
	v_writelane_b32 v45, s100, 4
	;; [unrolled: 1-line block ×3, first 2 shown]
	s_add_i32 s32, s32, 48
	scratch_store_dword off, v40, s33 offset:8 ; 4-byte Folded Spill
	scratch_store_dword off, v41, s33 offset:4 ; 4-byte Folded Spill
	scratch_store_dword off, v42, s33       ; 4-byte Folded Spill
	v_writelane_b32 v44, s34, 0
	v_writelane_b32 v44, s35, 1
	;; [unrolled: 1-line block ×67, first 2 shown]
	s_nop 1
	v_writelane_b32 v45, s31, 3
	v_mov_b32_e32 v40, v31
                                        ; implicit-def: $vgpr43 : SGPR spill to VGPR lane
	v_writelane_b32 v43, s12, 0
	s_or_saveexec_b64 s[100:101], -1
	v_accvgpr_write_b32 a32, v43
	s_mov_b64 exec, s[100:101]
	s_trap 2
	ds_read_b32 v0, v0
	v_and_b32_e32 v41, 0x3ff, v40
	s_mov_b64 s[96:97], s[8:9]
	s_waitcnt lgkmcnt(0)
	v_cmp_lt_i32_e32 vcc, v41, v0
	s_and_saveexec_b64 s[0:1], vcc
	s_cbranch_execz .LBB7_5
; %bb.1:
	s_load_dword s2, s[96:97], 0x0
	v_mov_b32_e32 v1, 0
	s_or_saveexec_b64 s[100:101], -1
	v_accvgpr_read_b32 v43, a32
	s_mov_b64 exec, s[100:101]
	v_readlane_b32 s3, v43, 0
	s_waitcnt lgkmcnt(0)
	s_cmp_lt_u32 s3, s2
	s_cselect_b32 s2, 12, 18
	s_add_u32 s2, s96, s2
	s_addc_u32 s3, s97, 0
	s_mov_b32 s6, 0
	global_load_ushort v1, v1, s[2:3]
	s_trap 2
	ds_read_b32 v3, v0
	s_mov_b64 s[2:3], 0
	v_mov_b32_e32 v4, v41
                                        ; implicit-def: $vgpr2
	s_waitcnt vmcnt(0) lgkmcnt(0)
	v_mul_lo_u32 v3, v3, v1
	s_branch .LBB7_3
.LBB7_2:                                ;   in Loop: Header=BB7_3 Depth=1
	s_or_b64 exec, exec, s[4:5]
	v_add_u32_e32 v4, v4, v1
	v_cmp_ge_i32_e32 vcc, v4, v0
	s_or_b64 s[2:3], vcc, s[2:3]
	v_add_u32_e32 v2, v2, v3
	s_andn2_b64 exec, exec, s[2:3]
	s_cbranch_execz .LBB7_5
.LBB7_3:                                ; =>This Inner Loop Header: Depth=1
	ds_read_b32 v5, v2
	s_waitcnt lgkmcnt(0)
	v_and_b32_e32 v5, 0x1000000, v5
	v_cmp_ne_u32_e32 vcc, 0, v5
	s_and_saveexec_b64 s[4:5], vcc
	s_cbranch_execz .LBB7_2
; %bb.4:                                ;   in Loop: Header=BB7_3 Depth=1
	ds_read_b64 v[6:7], v2 offset:104
	s_waitcnt lgkmcnt(0)
	flat_load_ubyte v5, v[6:7]
	v_mov_b32_e32 v7, s6
	s_waitcnt vmcnt(0) lgkmcnt(0)
	v_and_b32_e32 v6, 0xffff, v5
	ds_write_b64 v2, v[6:7] offset:104
	s_branch .LBB7_2
.LBB7_5:
	s_or_b64 exec, exec, s[0:1]
	s_waitcnt lgkmcnt(0)
	s_barrier
	s_trap 2
	ds_read_b32 v0, v0
	s_waitcnt lgkmcnt(0)
	v_cmp_gt_i32_e32 vcc, 1, v0
	s_cbranch_vccnz .LBB7_13
; %bb.6:
	s_mov_b32 s95, 0
	v_mov_b32_e32 v42, 6
	s_branch .LBB7_8
.LBB7_7:                                ;   in Loop: Header=BB7_8 Depth=1
	s_or_b64 exec, exec, s[98:99]
	s_trap 2
	ds_read_b32 v0, v0
	s_add_i32 s95, s95, 1
	s_waitcnt lgkmcnt(0)
	v_cmp_lt_i32_e32 vcc, s95, v0
	s_cbranch_vccz .LBB7_13
.LBB7_8:                                ; =>This Inner Loop Header: Depth=1
	s_trap 2
	ds_read_b32 v0, v0
	s_cmp_eq_u32 s95, 0
	s_cbranch_scc1 .LBB7_11
; %bb.9:                                ;   in Loop: Header=BB7_8 Depth=1
	s_trap 2
	s_waitcnt lgkmcnt(0)
	ds_read_b32 v1, v0
	s_waitcnt lgkmcnt(0)
	v_xor_b32_e32 v1, v1, v0
	v_and_b32_e32 v1, 0xff0000, v1
	v_cmp_eq_u32_e32 vcc, 0, v1
	s_cbranch_vccnz .LBB7_11
; %bb.10:                               ;   in Loop: Header=BB7_8 Depth=1
	s_barrier
	ds_read_b32 v0, v0
.LBB7_11:                               ;   in Loop: Header=BB7_8 Depth=1
	s_waitcnt lgkmcnt(0)
	v_lshlrev_b32_sdwa v1, v42, v0 dst_sel:DWORD dst_unused:UNUSED_PAD src0_sel:DWORD src1_sel:BYTE_2
	v_cmp_lt_u32_e32 vcc, v41, v1
	s_and_saveexec_b64 s[98:99], vcc
	s_cbranch_execz .LBB7_7
; %bb.12:                               ;   in Loop: Header=BB7_8 Depth=1
	s_getpc_b64 s[0:1]
	s_add_u32 s0, s0, _ZN12_GLOBAL__N_17runRingI19__hip_fp8_e5m2_fnuz13FuncPreMulSumIS1_E11ProtoSimpleILi1ELi1ELi0ELi4ELi0ELi0EELi0ELi4ELi0EEEviiP15ncclDevWorkColl@rel32@lo+4
	s_addc_u32 s1, s1, _ZN12_GLOBAL__N_17runRingI19__hip_fp8_e5m2_fnuz13FuncPreMulSumIS1_E11ProtoSimpleILi1ELi1ELi0ELi4ELi0ELi0EELi0ELi4ELi0EEEviiP15ncclDevWorkColl@rel32@hi+12
	s_mov_b64 s[8:9], s[96:97]
	s_or_saveexec_b64 s[100:101], -1
	v_accvgpr_read_b32 v43, a32
	s_mov_b64 exec, s[100:101]
	s_mov_b64 s[2:3], src_shared_base
	v_readlane_b32 s12, v43, 0
	v_mov_b32_e32 v31, v40
	v_mov_b32_e32 v0, v41
	;; [unrolled: 1-line block ×3, first 2 shown]
	s_swappc_b64 s[30:31], s[0:1]
	s_branch .LBB7_7
.LBB7_13:
	scratch_load_dword v42, off, s33        ; 4-byte Folded Reload
	scratch_load_dword v41, off, s33 offset:4 ; 4-byte Folded Reload
	scratch_load_dword v40, off, s33 offset:8 ; 4-byte Folded Reload
	v_readlane_b32 s30, v45, 2
	v_readlane_b32 s31, v45, 3
	;; [unrolled: 1-line block ×71, first 2 shown]
	s_or_saveexec_b64 s[2:3], -1
	scratch_load_dword a32, off, s33 offset:12 ; 4-byte Folded Reload
	scratch_load_dword v63, off, s33 offset:16 ; 4-byte Folded Reload
	;; [unrolled: 1-line block ×5, first 2 shown]
	s_mov_b64 exec, s[2:3]
	s_addk_i32 s32, 0xffd0
	s_mov_b32 s33, s0
	s_waitcnt vmcnt(0)
	s_setpc_b64 s[30:31]
.Lfunc_end7:
	.size	_Z53ncclDevFunc_Reduce_RING_SIMPLE_PreMulSum_f8e5m2_0_0_4v, .Lfunc_end7-_Z53ncclDevFunc_Reduce_RING_SIMPLE_PreMulSum_f8e5m2_0_0_4v
                                        ; -- End function
	.section	.AMDGPU.csdata,"",@progbits
; Function info:
; codeLenInByte = 1844
; NumSgprs: 108
; NumVgprs: 64
; NumAgprs: 64
; TotalNumVgprs: 128
; ScratchSize: 352
; MemoryBound: 0
	.text
	.p2alignl 6, 3212836864
	.fill 256, 4, 3212836864
	.type	__const.__assert_fail.fmt,@object ; @__const.__assert_fail.fmt
	.section	.rodata.str1.16,"aMS",@progbits,1
	.p2align	4, 0x0
__const.__assert_fail.fmt:
	.asciz	"%s:%u: %s: Device-side assertion `%s' failed.\n"
	.size	__const.__assert_fail.fmt, 47

	.type	.str.1,@object                  ; @.str.1
	.section	.rodata.str1.1,"aMS",@progbits,1
.str.1:
	.asciz	"2*(nrecv+nsend) <= nthreads"
	.size	.str.1, 28

	.type	.str.2,@object                  ; @.str.2
.str.2:
	.asciz	"/root/src/amdgpu-assembly/repos/ROCm__rccl/hipify/src/device/prims_simple.h"
	.size	.str.2, 76

	.type	__PRETTY_FUNCTION__._ZN10PrimitivesI19__hip_fp8_e5m2_fnuz13FuncPreMulSumIS0_E12FanSymmetricILi1EELi0E11ProtoSimpleILi1ELi1ELi0ELi1ELi0ELi0EELi0ELb0ELi0ELi0ELi0EEC2EiiPKiS9_PKvPvmhhhP15ncclDevWorkCollP14ncclDevWorkP2pii,@object ; @__PRETTY_FUNCTION__._ZN10PrimitivesI19__hip_fp8_e5m2_fnuz13FuncPreMulSumIS0_E12FanSymmetricILi1EELi0E11ProtoSimpleILi1ELi1ELi0ELi1ELi0ELi0EELi0ELb0ELi0ELi0ELi0EEC2EiiPKiS9_PKvPvmhhhP15ncclDevWorkCollP14ncclDevWorkP2pii
__PRETTY_FUNCTION__._ZN10PrimitivesI19__hip_fp8_e5m2_fnuz13FuncPreMulSumIS0_E12FanSymmetricILi1EELi0E11ProtoSimpleILi1ELi1ELi0ELi1ELi0ELi0EELi0ELb0ELi0ELi0ELi0EEC2EiiPKiS9_PKvPvmhhhP15ncclDevWorkCollP14ncclDevWorkP2pii:
	.asciz	"Primitives<__hip_fp8_e5m2_fnuz, FuncPreMulSum<rccl_bfloat8>, FanSymmetric<1>, 0, ProtoSimple<1, 1, 0, 1>, 0>::Primitives(int, int, const int *, const int *, const void *, void *, uint64_t, uint8_t, uint8_t, uint8_t, struct ncclDevWorkColl *, struct ncclDevWorkP2p *, int, int) [T = __hip_fp8_e5m2_fnuz, RedOp = FuncPreMulSum<rccl_bfloat8>, Fan = FanSymmetric<1>, Direct = 0, Proto = ProtoSimple<1, 1, 0, 1>, P2p = 0, isNetOffload = false, Metadata = 0, Pipeline = 0, useAcc = 0]"
	.size	__PRETTY_FUNCTION__._ZN10PrimitivesI19__hip_fp8_e5m2_fnuz13FuncPreMulSumIS0_E12FanSymmetricILi1EELi0E11ProtoSimpleILi1ELi1ELi0ELi1ELi0ELi0EELi0ELb0ELi0ELi0ELi0EEC2EiiPKiS9_PKvPvmhhhP15ncclDevWorkCollP14ncclDevWorkP2pii, 479

	.type	__PRETTY_FUNCTION__._ZN10PrimitivesI19__hip_fp8_e5m2_fnuz13FuncPreMulSumIS0_E12FanSymmetricILi1EELi0E11ProtoSimpleILi1ELi1ELi0ELi2ELi0ELi0EELi0ELb0ELi0ELi0ELi0EEC2EiiPKiS9_PKvPvmhhhP15ncclDevWorkCollP14ncclDevWorkP2pii,@object ; @__PRETTY_FUNCTION__._ZN10PrimitivesI19__hip_fp8_e5m2_fnuz13FuncPreMulSumIS0_E12FanSymmetricILi1EELi0E11ProtoSimpleILi1ELi1ELi0ELi2ELi0ELi0EELi0ELb0ELi0ELi0ELi0EEC2EiiPKiS9_PKvPvmhhhP15ncclDevWorkCollP14ncclDevWorkP2pii
__PRETTY_FUNCTION__._ZN10PrimitivesI19__hip_fp8_e5m2_fnuz13FuncPreMulSumIS0_E12FanSymmetricILi1EELi0E11ProtoSimpleILi1ELi1ELi0ELi2ELi0ELi0EELi0ELb0ELi0ELi0ELi0EEC2EiiPKiS9_PKvPvmhhhP15ncclDevWorkCollP14ncclDevWorkP2pii:
	.asciz	"Primitives<__hip_fp8_e5m2_fnuz, FuncPreMulSum<rccl_bfloat8>, FanSymmetric<1>, 0, ProtoSimple<1, 1, 0, 2>, 0>::Primitives(int, int, const int *, const int *, const void *, void *, uint64_t, uint8_t, uint8_t, uint8_t, struct ncclDevWorkColl *, struct ncclDevWorkP2p *, int, int) [T = __hip_fp8_e5m2_fnuz, RedOp = FuncPreMulSum<rccl_bfloat8>, Fan = FanSymmetric<1>, Direct = 0, Proto = ProtoSimple<1, 1, 0, 2>, P2p = 0, isNetOffload = false, Metadata = 0, Pipeline = 0, useAcc = 0]"
	.size	__PRETTY_FUNCTION__._ZN10PrimitivesI19__hip_fp8_e5m2_fnuz13FuncPreMulSumIS0_E12FanSymmetricILi1EELi0E11ProtoSimpleILi1ELi1ELi0ELi2ELi0ELi0EELi0ELb0ELi0ELi0ELi0EEC2EiiPKiS9_PKvPvmhhhP15ncclDevWorkCollP14ncclDevWorkP2pii, 479

	.type	__PRETTY_FUNCTION__._ZN10PrimitivesI19__hip_fp8_e5m2_fnuz13FuncPreMulSumIS0_E12FanSymmetricILi1EELi0E11ProtoSimpleILi1ELi1ELi0ELi4ELi0ELi0EELi0ELb0ELi0ELi0ELi0EEC2EiiPKiS9_PKvPvmhhhP15ncclDevWorkCollP14ncclDevWorkP2pii,@object ; @__PRETTY_FUNCTION__._ZN10PrimitivesI19__hip_fp8_e5m2_fnuz13FuncPreMulSumIS0_E12FanSymmetricILi1EELi0E11ProtoSimpleILi1ELi1ELi0ELi4ELi0ELi0EELi0ELb0ELi0ELi0ELi0EEC2EiiPKiS9_PKvPvmhhhP15ncclDevWorkCollP14ncclDevWorkP2pii
__PRETTY_FUNCTION__._ZN10PrimitivesI19__hip_fp8_e5m2_fnuz13FuncPreMulSumIS0_E12FanSymmetricILi1EELi0E11ProtoSimpleILi1ELi1ELi0ELi4ELi0ELi0EELi0ELb0ELi0ELi0ELi0EEC2EiiPKiS9_PKvPvmhhhP15ncclDevWorkCollP14ncclDevWorkP2pii:
	.asciz	"Primitives<__hip_fp8_e5m2_fnuz, FuncPreMulSum<rccl_bfloat8>, FanSymmetric<1>, 0, ProtoSimple<1, 1, 0, 4>, 0>::Primitives(int, int, const int *, const int *, const void *, void *, uint64_t, uint8_t, uint8_t, uint8_t, struct ncclDevWorkColl *, struct ncclDevWorkP2p *, int, int) [T = __hip_fp8_e5m2_fnuz, RedOp = FuncPreMulSum<rccl_bfloat8>, Fan = FanSymmetric<1>, Direct = 0, Proto = ProtoSimple<1, 1, 0, 4>, P2p = 0, isNetOffload = false, Metadata = 0, Pipeline = 0, useAcc = 0]"
	.size	__PRETTY_FUNCTION__._ZN10PrimitivesI19__hip_fp8_e5m2_fnuz13FuncPreMulSumIS0_E12FanSymmetricILi1EELi0E11ProtoSimpleILi1ELi1ELi0ELi4ELi0ELi0EELi0ELb0ELi0ELi0ELi0EEC2EiiPKiS9_PKvPvmhhhP15ncclDevWorkCollP14ncclDevWorkP2pii, 479

	.type	__hip_cuid_d9a7cc80b3d90ad1,@object ; @__hip_cuid_d9a7cc80b3d90ad1
	.section	.bss,"aw",@nobits
	.globl	__hip_cuid_d9a7cc80b3d90ad1
__hip_cuid_d9a7cc80b3d90ad1:
	.byte	0                               ; 0x0
	.size	__hip_cuid_d9a7cc80b3d90ad1, 1

	.ident	"AMD clang version 19.0.0git (https://github.com/RadeonOpenCompute/llvm-project roc-6.4.0 25133 c7fe45cf4b819c5991fe208aaa96edf142730f1d)"
	.section	".note.GNU-stack","",@progbits
	.addrsig
	.addrsig_sym _Z53ncclDevFunc_Reduce_RING_SIMPLE_PreMulSum_f8e5m2_0_0_1v
	.addrsig_sym _Z53ncclDevFunc_Reduce_RING_SIMPLE_PreMulSum_f8e5m2_0_0_2v
	.addrsig_sym _Z53ncclDevFunc_Reduce_RING_SIMPLE_PreMulSum_f8e5m2_0_0_4v
	.addrsig_sym ncclShmem
	.addrsig_sym __hip_cuid_d9a7cc80b3d90ad1
	.amdgpu_metadata
---
amdhsa.kernels:  []
amdhsa.target:   amdgcn-amd-amdhsa--gfx942
amdhsa.version:
  - 1
  - 2
...

	.end_amdgpu_metadata
